;; amdgpu-corpus repo=ROCm/rocFFT kind=compiled arch=gfx950 opt=O3
	.text
	.amdgcn_target "amdgcn-amd-amdhsa--gfx950"
	.amdhsa_code_object_version 6
	.protected	bluestein_single_fwd_len1176_dim1_sp_op_CI_CI ; -- Begin function bluestein_single_fwd_len1176_dim1_sp_op_CI_CI
	.globl	bluestein_single_fwd_len1176_dim1_sp_op_CI_CI
	.p2align	8
	.type	bluestein_single_fwd_len1176_dim1_sp_op_CI_CI,@function
bluestein_single_fwd_len1176_dim1_sp_op_CI_CI: ; @bluestein_single_fwd_len1176_dim1_sp_op_CI_CI
; %bb.0:
	s_load_dwordx4 s[8:11], s[0:1], 0x28
	v_mul_u32_u24_e32 v1, 0x493, v0
	v_mov_b32_e32 v137, 0
	v_add_u32_sdwa v142, s2, v1 dst_sel:DWORD dst_unused:UNUSED_PAD src0_sel:DWORD src1_sel:WORD_1
	v_mov_b32_e32 v143, v137
	s_waitcnt lgkmcnt(0)
	v_cmp_gt_u64_e32 vcc, s[8:9], v[142:143]
	s_and_saveexec_b64 s[2:3], vcc
	s_cbranch_execz .LBB0_31
; %bb.1:
	s_load_dwordx4 s[4:7], s[0:1], 0x18
	s_load_dwordx2 s[12:13], s[0:1], 0x0
	v_mov_b32_e32 v2, s10
	v_mov_b32_e32 v3, s11
	;; [unrolled: 1-line block ×3, first 2 shown]
	s_waitcnt lgkmcnt(0)
	s_load_dwordx4 s[8:11], s[4:5], 0x0
	v_mul_lo_u16_sdwa v1, v1, v4 dst_sel:DWORD dst_unused:UNUSED_PAD src0_sel:WORD_1 src1_sel:DWORD
	v_sub_u16_e32 v136, v0, v1
	v_lshlrev_b32_e32 v120, 3, v136
	v_mov_b32_e32 v121, v137
	s_waitcnt lgkmcnt(0)
	v_mad_u64_u32 v[0:1], s[2:3], s10, v142, 0
	v_mov_b32_e32 v4, v1
	v_mad_u64_u32 v[4:5], s[2:3], s11, v142, v[4:5]
	v_mov_b32_e32 v1, v4
	v_mad_u64_u32 v[4:5], s[2:3], s8, v136, 0
	v_mov_b32_e32 v6, v5
	v_mad_u64_u32 v[6:7], s[2:3], s9, v136, v[6:7]
	s_mul_i32 s2, s9, 0x24c
	s_mul_hi_u32 s3, s8, 0x24c
	v_mov_b32_e32 v5, v6
	v_lshl_add_u64 v[0:1], v[0:1], 3, v[2:3]
	s_add_i32 s15, s3, s2
	s_mul_i32 s14, s8, 0x24c
	v_lshl_add_u64 v[2:3], v[4:5], 3, v[0:1]
	v_lshl_add_u64 v[122:123], s[12:13], 0, v[120:121]
	s_lshl_b64 s[2:3], s[14:15], 3
	s_movk_i32 s4, 0x1000
	global_load_dwordx2 v[152:153], v120, s[12:13]
	v_lshl_add_u64 v[4:5], v[2:3], 0, s[2:3]
	global_load_dwordx2 v[6:7], v[2:3], off
	global_load_dwordx2 v[8:9], v[4:5], off
	v_add_co_u32_e32 v2, vcc, s4, v122
	s_mul_hi_u32 s5, s8, 0xfffffdec
	s_nop 0
	v_addc_co_u32_e32 v3, vcc, 0, v123, vcc
	global_load_dwordx2 v[148:149], v[2:3], off offset:608
	s_mul_i32 s4, s9, 0xfffffdec
	s_sub_i32 s5, s5, s8
	s_add_i32 s17, s5, s4
	s_mul_i32 s16, s8, 0xfffffdec
	s_lshl_b64 s[18:19], s[16:17], 3
	v_lshl_add_u64 v[4:5], v[4:5], 0, s[18:19]
	global_load_dwordx2 v[146:147], v120, s[12:13] offset:448
	global_load_dwordx2 v[10:11], v[4:5], off
	v_lshl_add_u64 v[4:5], v[4:5], 0, s[2:3]
	global_load_dwordx2 v[12:13], v[4:5], off
	v_lshl_add_u64 v[4:5], v[4:5], 0, s[18:19]
	global_load_dwordx2 v[144:145], v[2:3], off offset:1056
	global_load_dwordx2 v[164:165], v[2:3], off offset:1504
	global_load_dwordx2 v[14:15], v[4:5], off
	v_lshl_add_u64 v[4:5], v[4:5], 0, s[2:3]
	global_load_dwordx2 v[166:167], v120, s[12:13] offset:896
	s_load_dwordx4 s[4:7], s[6:7], 0x0
	global_load_dwordx2 v[16:17], v[4:5], off
	global_load_dwordx2 v[162:163], v120, s[12:13] offset:1344
	v_lshl_add_u64 v[4:5], v[4:5], 0, s[18:19]
	global_load_dwordx2 v[18:19], v[4:5], off
	global_load_dwordx2 v[158:159], v120, s[12:13] offset:1792
	global_load_dwordx2 v[154:155], v120, s[12:13] offset:2240
	;; [unrolled: 1-line block ×4, first 2 shown]
	global_load_dwordx2 v[160:161], v[2:3], off offset:1952
	v_lshl_add_u64 v[4:5], v[4:5], 0, s[2:3]
	global_load_dwordx2 v[20:21], v[4:5], off
	v_lshl_add_u64 v[4:5], v[4:5], 0, s[18:19]
	global_load_dwordx2 v[22:23], v[4:5], off
	global_load_dwordx2 v[156:157], v[2:3], off offset:2400
	global_load_dwordx2 v[150:151], v[2:3], off offset:2848
	;; [unrolled: 1-line block ×4, first 2 shown]
	v_lshl_add_u64 v[2:3], v[4:5], 0, s[2:3]
	v_or_b32_e32 v121, 0x1c0, v136
	global_load_dwordx2 v[4:5], v[2:3], off
	v_lshl_add_u64 v[2:3], v[2:3], 0, s[18:19]
	global_load_dwordx2 v[24:25], v[2:3], off
	v_lshl_add_u64 v[2:3], v[2:3], 0, s[2:3]
	;; [unrolled: 2-line block ×6, first 2 shown]
	global_load_dwordx2 v[34:35], v[2:3], off
	s_load_dwordx2 s[10:11], s[0:1], 0x38
	s_waitcnt vmcnt(30)
	v_mul_f32_e32 v36, v7, v153
	v_mul_f32_e32 v37, v6, v153
	v_fmac_f32_e32 v36, v6, v152
	v_fma_f32 v37, v7, v152, -v37
	s_waitcnt vmcnt(28)
	v_mul_f32_e32 v6, v9, v149
	v_mul_f32_e32 v7, v8, v149
	v_fmac_f32_e32 v6, v8, v148
	v_fma_f32 v7, v9, v148, -v7
	v_mad_u64_u32 v[8:9], s[20:21], s8, v121, 0
	v_mov_b32_e32 v38, v9
	v_mad_u64_u32 v[38:39], s[20:21], s9, v121, v[38:39]
	v_mov_b32_e32 v9, v38
	v_lshl_add_u64 v[0:1], v[8:9], 3, v[0:1]
	global_load_dwordx2 v[8:9], v[0:1], off
	global_load_dwordx2 v[134:135], v120, s[12:13] offset:3584
	v_mov_b32_e32 v0, 0x1c0
	v_mad_u64_u32 v[0:1], s[20:21], s8, v0, v[2:3]
	s_mul_i32 s8, s9, 0x1c0
	v_add_u32_e32 v1, s8, v1
	s_movk_i32 s8, 0x2000
	v_add_co_u32_e32 v2, vcc, s8, v122
	global_load_dwordx2 v[38:39], v[0:1], off
	s_nop 0
	v_addc_co_u32_e32 v3, vcc, 0, v123, vcc
	global_load_dwordx2 v[130:131], v[2:3], off offset:96
	ds_write_b64 v120, v[6:7] offset:4704
	v_lshl_add_u64 v[0:1], v[0:1], 0, s[18:19]
	global_load_dwordx2 v[40:41], v[0:1], off
	global_load_dwordx2 v[126:127], v120, s[12:13] offset:4032
	s_waitcnt vmcnt(32)
	v_mul_f32_e32 v6, v11, v147
	v_mul_f32_e32 v7, v10, v147
	v_lshl_add_u64 v[0:1], v[0:1], 0, s[2:3]
	v_fmac_f32_e32 v6, v10, v146
	v_fma_f32 v7, v11, v146, -v7
	global_load_dwordx2 v[10:11], v[0:1], off
	global_load_dwordx2 v[124:125], v[2:3], off offset:544
	ds_write2_b64 v120, v[36:37], v[6:7] offset1:56
	s_waitcnt vmcnt(32)
	v_mul_f32_e32 v6, v13, v145
	v_mul_f32_e32 v2, v12, v145
	v_fmac_f32_e32 v6, v12, v144
	v_fma_f32 v7, v13, v144, -v2
	s_waitcnt vmcnt(29)
	v_mul_f32_e32 v12, v15, v167
	v_mul_f32_e32 v2, v14, v167
	v_fmac_f32_e32 v12, v14, v166
	v_fma_f32 v13, v15, v166, -v2
	;; [unrolled: 5-line block ×3, first 2 shown]
	v_add_u32_e32 v2, 0x1000, v120
	ds_write2_b64 v2, v[6:7], v[14:15] offset0:132 offset1:188
	s_waitcnt vmcnt(26)
	v_mul_f32_e32 v6, v19, v163
	v_mul_f32_e32 v3, v18, v163
	v_fmac_f32_e32 v6, v18, v162
	v_fma_f32 v7, v19, v162, -v3
	s_waitcnt vmcnt(20)
	v_mul_f32_e32 v3, v20, v161
	ds_write2_b64 v120, v[12:13], v[6:7] offset0:112 offset1:168
	v_fma_f32 v7, v21, v160, -v3
	s_waitcnt vmcnt(19)
	v_mul_f32_e32 v3, v22, v159
	v_mul_f32_e32 v6, v21, v161
	v_fma_f32 v13, v23, v158, -v3
	s_waitcnt vmcnt(14)
	v_mul_f32_e32 v14, v5, v157
	v_mul_f32_e32 v3, v4, v157
	v_fmac_f32_e32 v6, v20, v160
	v_fmac_f32_e32 v14, v4, v156
	v_fma_f32 v15, v5, v156, -v3
	v_add_u32_e32 v3, 0x1400, v120
	v_mul_f32_e32 v12, v23, v159
	ds_write2_b64 v3, v[6:7], v[14:15] offset0:116 offset1:172
	s_waitcnt vmcnt(13)
	v_mul_f32_e32 v4, v25, v155
	v_mul_f32_e32 v3, v24, v155
	v_fmac_f32_e32 v12, v22, v158
	v_fmac_f32_e32 v4, v24, v154
	v_fma_f32 v5, v25, v154, -v3
	v_add_u32_e32 v3, 0x400, v120
	ds_write2_b64 v3, v[12:13], v[4:5] offset0:96 offset1:152
	s_waitcnt vmcnt(12)
	v_mul_f32_e32 v4, v27, v151
	v_mul_f32_e32 v5, v26, v151
	s_waitcnt vmcnt(10)
	v_mul_f32_e32 v12, v31, v139
	v_mul_f32_e32 v13, v30, v139
	v_fmac_f32_e32 v4, v26, v150
	v_fma_f32 v5, v27, v150, -v5
	v_fmac_f32_e32 v12, v30, v138
	v_fma_f32 v13, v31, v138, -v13
	v_add_u32_e32 v16, 0x1800, v120
	v_mul_f32_e32 v6, v29, v141
	v_mul_f32_e32 v7, v28, v141
	ds_write2_b64 v16, v[4:5], v[12:13] offset0:100 offset1:156
	s_waitcnt vmcnt(9)
	v_mul_f32_e32 v4, v33, v133
	v_mul_f32_e32 v5, v32, v133
	v_fmac_f32_e32 v6, v28, v140
	v_fma_f32 v7, v29, v140, -v7
	v_fmac_f32_e32 v4, v32, v132
	v_fma_f32 v5, v33, v132, -v5
	v_add_u32_e32 v17, 0x800, v120
	ds_write2_b64 v17, v[6:7], v[4:5] offset0:80 offset1:136
	s_waitcnt vmcnt(6)
	v_mul_f32_e32 v6, v9, v135
	v_mul_f32_e32 v7, v8, v135
	;; [unrolled: 1-line block ×4, first 2 shown]
	v_fmac_f32_e32 v6, v8, v134
	v_fma_f32 v7, v9, v134, -v7
	v_fmac_f32_e32 v4, v34, v128
	v_fma_f32 v5, v35, v128, -v5
	v_add_u32_e32 v12, 0x1c00, v120
	v_cmp_gt_u16_e64 s[2:3], 28, v136
	s_waitcnt vmcnt(4)
	v_mul_f32_e32 v8, v39, v131
	v_mul_f32_e32 v9, v38, v131
	v_fmac_f32_e32 v8, v38, v130
	v_fma_f32 v9, v39, v130, -v9
	ds_write2_b64 v12, v[4:5], v[8:9] offset0:84 offset1:140
	s_waitcnt vmcnt(2)
	v_mul_f32_e32 v4, v41, v127
	v_mul_f32_e32 v5, v40, v127
	v_fmac_f32_e32 v4, v40, v126
	v_fma_f32 v5, v41, v126, -v5
	ds_write2_b64 v17, v[6:7], v[4:5] offset0:192 offset1:248
	s_waitcnt vmcnt(0)
	v_mul_f32_e32 v4, v11, v125
	v_mul_f32_e32 v5, v10, v125
	v_fmac_f32_e32 v4, v10, v124
	v_fma_f32 v5, v11, v124, -v5
	ds_write_b64 v120, v[4:5] offset:8736
	s_and_saveexec_b64 s[8:9], s[2:3]
	s_cbranch_execz .LBB0_3
; %bb.2:
	v_add_co_u32_e32 v6, vcc, 0x1000, v122
	v_lshl_add_u64 v[0:1], s[16:17], 3, v[0:1]
	s_nop 0
	v_addc_co_u32_e32 v7, vcc, 0, v123, vcc
	v_add_co_u32_e32 v8, vcc, 0x2000, v122
	global_load_dwordx2 v[4:5], v[0:1], off
	v_lshl_add_u64 v[0:1], s[14:15], 3, v[0:1]
	global_load_dwordx2 v[6:7], v[6:7], off offset:384
	v_addc_co_u32_e32 v9, vcc, 0, v123, vcc
	global_load_dwordx2 v[8:9], v[8:9], off offset:992
	s_waitcnt vmcnt(1)
	v_mul_f32_e32 v10, v5, v7
	global_load_dwordx2 v[0:1], v[0:1], off
	v_mul_f32_e32 v7, v4, v7
	v_fmac_f32_e32 v10, v4, v6
	v_fma_f32 v11, v5, v6, -v7
	ds_write_b64 v120, v[10:11] offset:4480
	s_waitcnt vmcnt(0)
	v_mul_f32_e32 v4, v1, v9
	v_mul_f32_e32 v5, v0, v9
	v_fmac_f32_e32 v4, v0, v8
	v_fma_f32 v5, v1, v8, -v5
	ds_write_b64 v120, v[4:5] offset:9184
.LBB0_3:
	s_or_b64 exec, exec, s[8:9]
	s_waitcnt lgkmcnt(0)
	; wave barrier
	s_waitcnt lgkmcnt(0)
	ds_read2_b64 v[20:23], v120 offset1:56
	ds_read2_b64 v[36:39], v2 offset0:76 offset1:132
	ds_read2_b64 v[12:15], v120 offset0:112 offset1:168
	;; [unrolled: 1-line block ×8, first 2 shown]
	v_add_u32_e32 v16, 0x2000, v120
	ds_read2_b64 v[16:19], v16 offset0:12 offset1:68
                                        ; implicit-def: $vgpr40
                                        ; implicit-def: $vgpr42
	s_and_saveexec_b64 s[8:9], s[2:3]
	s_cbranch_execz .LBB0_5
; %bb.4:
	ds_read_b64 v[40:41], v120 offset:4480
	ds_read_b64 v[42:43], v120 offset:9184
.LBB0_5:
	s_or_b64 exec, exec, s[8:9]
	s_mov_b64 s[8:9], 0x70
	v_lshl_add_u64 v[44:45], v[136:137], 0, s[8:9]
	s_mov_b64 s[8:9], 0xa8
	v_lshl_add_u64 v[54:55], v[136:137], 0, s[8:9]
	s_mov_b64 s[8:9], 0xe0
	s_waitcnt lgkmcnt(8)
	v_pk_add_f32 v[36:37], v[20:21], v[36:37] neg_lo:[0,1] neg_hi:[0,1]
	v_lshl_add_u64 v[46:47], v[136:137], 0, 56
	v_lshl_add_u64 v[52:53], v[136:137], 0, s[8:9]
	s_mov_b64 s[8:9], 0x118
	v_pk_add_f32 v[38:39], v[22:23], v[38:39] neg_lo:[0,1] neg_hi:[0,1]
	s_waitcnt lgkmcnt(6)
	v_pk_add_f32 v[32:33], v[12:13], v[32:33] neg_lo:[0,1] neg_hi:[0,1]
	v_pk_add_f32 v[62:63], v[14:15], v[34:35] neg_lo:[0,1] neg_hi:[0,1]
	s_waitcnt lgkmcnt(2)
	v_pk_add_f32 v[66:67], v[6:7], v[26:27] neg_lo:[0,1] neg_hi:[0,1]
	v_lshlrev_b32_e32 v26, 4, v136
	v_pk_fma_f32 v[34:35], v[20:21], 2.0, v[36:37] op_sel_hi:[1,0,1] neg_lo:[0,0,1] neg_hi:[0,0,1]
	s_load_dwordx2 s[0:1], s[0:1], 0x8
	v_lshl_add_u64 v[50:51], v[136:137], 0, s[8:9]
	s_mov_b64 s[8:9], 0x150
	v_pk_add_f32 v[28:29], v[8:9], v[28:29] neg_lo:[0,1] neg_hi:[0,1]
	v_pk_add_f32 v[64:65], v[10:11], v[30:31] neg_lo:[0,1] neg_hi:[0,1]
	s_waitcnt lgkmcnt(0)
	; wave barrier
	s_waitcnt lgkmcnt(0)
	ds_write_b128 v26, v[34:37]
	v_lshlrev_b32_e32 v20, 4, v46
	v_pk_fma_f32 v[36:37], v[22:23], 2.0, v[38:39] op_sel_hi:[1,0,1] neg_lo:[0,0,1] neg_hi:[0,0,1]
	v_lshlrev_b32_e32 v217, 4, v44
	v_pk_fma_f32 v[30:31], v[12:13], 2.0, v[32:33] op_sel_hi:[1,0,1] neg_lo:[0,0,1] neg_hi:[0,0,1]
	;; [unrolled: 2-line block ×3, first 2 shown]
	v_lshl_add_u64 v[48:49], v[136:137], 0, s[8:9]
	v_lshlrev_b32_e32 v45, 1, v136
	s_mov_b64 s[8:9], 0x230
	v_pk_add_f32 v[24:25], v[4:5], v[24:25] neg_lo:[0,1] neg_hi:[0,1]
	v_accvgpr_write_b32 a1, v26
	ds_write_b128 v20, v[36:39]
	ds_write_b128 v217, v[30:33]
	ds_write_b128 v12, v[60:63]
	v_lshlrev_b32_e32 v143, 4, v52
	v_pk_fma_f32 v[26:27], v[8:9], 2.0, v[28:29] op_sel_hi:[1,0,1] neg_lo:[0,0,1] neg_hi:[0,0,1]
	v_lshlrev_b32_e32 v180, 4, v50
	v_pk_fma_f32 v[62:63], v[10:11], 2.0, v[64:65] op_sel_hi:[1,0,1] neg_lo:[0,0,1] neg_hi:[0,0,1]
	v_lshl_add_u64 v[58:59], v[136:137], 0, s[8:9]
	v_pk_add_f32 v[68:69], v[0:1], v[16:17] neg_lo:[0,1] neg_hi:[0,1]
	ds_write_b128 v143, v[26:29]
	ds_write_b128 v180, v[62:65]
	v_lshlrev_b32_e32 v181, 4, v48
	v_pk_fma_f32 v[22:23], v[4:5], 2.0, v[24:25] op_sel_hi:[1,0,1] neg_lo:[0,0,1] neg_hi:[0,0,1]
	v_pk_fma_f32 v[64:65], v[6:7], 2.0, v[66:67] op_sel_hi:[1,0,1] neg_lo:[0,0,1] neg_hi:[0,0,1]
	v_lshlrev_b32_e32 v4, 3, v45
	v_pk_add_f32 v[70:71], v[2:3], v[18:19] neg_lo:[0,1] neg_hi:[0,1]
	v_pk_add_f32 v[18:19], v[40:41], v[42:43] neg_lo:[0,1] neg_hi:[0,1]
	ds_write_b128 v181, v[22:25]
	ds_write_b128 v4, v[64:67] offset:6272
	v_lshlrev_b32_e32 v182, 4, v121
	v_pk_fma_f32 v[66:67], v[0:1], 2.0, v[68:69] op_sel_hi:[1,0,1] neg_lo:[0,0,1] neg_hi:[0,0,1]
	v_lshlrev_b32_e32 v0, 4, v58
	v_pk_fma_f32 v[16:17], v[40:41], 2.0, v[18:19] op_sel_hi:[1,0,1] neg_lo:[0,0,1] neg_hi:[0,0,1]
	v_lshlrev_b32_e32 v49, 1, v46
	v_accvgpr_write_b32 a2, v20
	v_lshlrev_b32_e32 v51, 1, v44
	v_lshlrev_b32_e32 v53, 1, v54
	v_accvgpr_write_b32 a3, v12
	v_lshlrev_b32_e32 v55, 1, v52
	v_lshlrev_b32_e32 v59, 1, v50
	;; [unrolled: 1-line block ×3, first 2 shown]
	v_add_u32_e32 v193, 0x310, v45
	v_lshlrev_b32_e32 v47, 1, v121
	ds_write_b128 v182, v[66:69]
	v_add_u32_e32 v199, 0x3f0, v45
	v_pk_fma_f32 v[68:69], v[2:3], 2.0, v[70:71] op_sel_hi:[1,0,1] neg_lo:[0,0,1] neg_hi:[0,0,1]
	v_accvgpr_write_b32 a4, v0
	ds_write_b128 v4, v[68:71] offset:8064
	s_and_saveexec_b64 s[8:9], s[2:3]
	s_cbranch_execz .LBB0_7
; %bb.6:
	v_accvgpr_read_b32 v0, a4
	ds_write_b128 v0, v[16:19]
.LBB0_7:
	s_or_b64 exec, exec, s[8:9]
	v_add_u32_e32 v0, 0x1000, v120
	s_waitcnt lgkmcnt(0)
	; wave barrier
	s_waitcnt lgkmcnt(0)
	ds_read2_b64 v[36:39], v120 offset1:56
	ds_read2_b64 v[40:43], v0 offset0:76 offset1:132
	ds_read2_b64 v[28:31], v120 offset0:112 offset1:168
	;; [unrolled: 1-line block ×3, first 2 shown]
	v_add_u32_e32 v0, 0x400, v120
	ds_read2_b64 v[20:23], v0 offset0:96 offset1:152
	v_add_u32_e32 v0, 0x1800, v120
	v_add_u32_e32 v1, 0x800, v120
	ds_read2_b64 v[24:27], v0 offset0:44 offset1:100
	ds_read2_b64 v[8:11], v1 offset0:80 offset1:136
	;; [unrolled: 1-line block ×4, first 2 shown]
	v_add_u32_e32 v4, 0x2000, v120
	ds_read2_b64 v[4:7], v4 offset0:12 offset1:68
	s_and_saveexec_b64 s[8:9], s[2:3]
	s_cbranch_execz .LBB0_9
; %bb.8:
	ds_read_b64 v[16:17], v120 offset:4480
	ds_read_b64 v[18:19], v120 offset:9184
.LBB0_9:
	s_or_b64 exec, exec, s[8:9]
	v_and_b32_e32 v137, 1, v136
	v_lshlrev_b32_e32 v56, 3, v137
	global_load_dwordx2 v[170:171], v56, s[0:1]
	s_movk_i32 s8, 0x7c
	s_waitcnt lgkmcnt(0)
	; wave barrier
	s_waitcnt lgkmcnt(0)
	s_movk_i32 s9, 0x2fc
	s_waitcnt vmcnt(0)
	v_pk_mul_f32 v[56:57], v[18:19], v[170:171] op_sel:[1,0]
	s_nop 0
	v_pk_fma_f32 v[60:61], v[18:19], v[170:171], v[56:57] op_sel:[0,0,1] op_sel_hi:[1,1,0] neg_lo:[0,0,1] neg_hi:[0,0,1]
	v_pk_fma_f32 v[18:19], v[18:19], v[170:171], v[56:57] op_sel:[0,0,1] op_sel_hi:[0,1,0]
	v_mov_b32_e32 v61, v19
	v_pk_add_f32 v[60:61], v[16:17], v[60:61] neg_lo:[0,1] neg_hi:[0,1]
	s_nop 0
	v_pk_fma_f32 v[56:57], v[16:17], 2.0, v[60:61] op_sel_hi:[1,0,1] neg_lo:[0,0,1] neg_hi:[0,0,1]
	v_and_or_b32 v16, v45, s8, v137
	v_lshlrev_b32_e32 v183, 3, v16
	v_pk_mul_f32 v[16:17], v[40:41], v[170:171] op_sel:[0,1]
	s_movk_i32 s8, 0xfc
	v_pk_fma_f32 v[18:19], v[40:41], v[170:171], v[16:17] op_sel:[0,0,1] op_sel_hi:[1,1,0] neg_lo:[0,0,1] neg_hi:[0,0,1]
	v_pk_fma_f32 v[16:17], v[40:41], v[170:171], v[16:17] op_sel:[0,0,1] op_sel_hi:[1,0,0]
	s_nop 0
	v_mov_b32_e32 v19, v17
	v_pk_add_f32 v[16:17], v[36:37], v[18:19] neg_lo:[0,1] neg_hi:[0,1]
	s_nop 0
	v_pk_fma_f32 v[18:19], v[36:37], 2.0, v[16:17] op_sel_hi:[1,0,1] neg_lo:[0,0,1] neg_hi:[0,0,1]
	ds_write2_b64 v183, v[18:19], v[16:17] offset1:2
	v_and_or_b32 v16, v49, s8, v137
	v_lshlrev_b32_e32 v184, 3, v16
	v_pk_mul_f32 v[16:17], v[42:43], v[170:171] op_sel:[0,1]
	s_movk_i32 s8, 0x1fc
	v_pk_fma_f32 v[18:19], v[42:43], v[170:171], v[16:17] op_sel:[0,0,1] op_sel_hi:[1,1,0] neg_lo:[0,0,1] neg_hi:[0,0,1]
	v_pk_fma_f32 v[16:17], v[42:43], v[170:171], v[16:17] op_sel:[0,0,1] op_sel_hi:[1,0,0]
	s_nop 0
	v_mov_b32_e32 v19, v17
	v_pk_add_f32 v[16:17], v[38:39], v[18:19] neg_lo:[0,1] neg_hi:[0,1]
	s_nop 0
	v_pk_fma_f32 v[18:19], v[38:39], 2.0, v[16:17] op_sel_hi:[1,0,1] neg_lo:[0,0,1] neg_hi:[0,0,1]
	ds_write2_b64 v184, v[18:19], v[16:17] offset1:2
	v_and_or_b32 v16, v51, s8, v137
	v_lshlrev_b32_e32 v185, 3, v16
	v_pk_mul_f32 v[16:17], v[32:33], v[170:171] op_sel:[0,1]
	s_nop 0
	v_pk_fma_f32 v[18:19], v[32:33], v[170:171], v[16:17] op_sel:[0,0,1] op_sel_hi:[1,1,0] neg_lo:[0,0,1] neg_hi:[0,0,1]
	v_pk_fma_f32 v[16:17], v[32:33], v[170:171], v[16:17] op_sel:[0,0,1] op_sel_hi:[1,0,0]
	s_nop 0
	v_mov_b32_e32 v19, v17
	v_pk_add_f32 v[16:17], v[28:29], v[18:19] neg_lo:[0,1] neg_hi:[0,1]
	s_nop 0
	v_pk_fma_f32 v[18:19], v[28:29], 2.0, v[16:17] op_sel_hi:[1,0,1] neg_lo:[0,0,1] neg_hi:[0,0,1]
	ds_write2_b64 v185, v[18:19], v[16:17] offset1:2
	v_and_or_b32 v16, v53, s8, v137
	v_lshlrev_b32_e32 v186, 3, v16
	v_pk_mul_f32 v[16:17], v[34:35], v[170:171] op_sel:[0,1]
	s_movk_i32 s8, 0x3fc
	v_pk_fma_f32 v[18:19], v[34:35], v[170:171], v[16:17] op_sel:[0,0,1] op_sel_hi:[1,1,0] neg_lo:[0,0,1] neg_hi:[0,0,1]
	v_pk_fma_f32 v[16:17], v[34:35], v[170:171], v[16:17] op_sel:[0,0,1] op_sel_hi:[1,0,0]
	s_nop 0
	v_mov_b32_e32 v19, v17
	v_pk_add_f32 v[16:17], v[30:31], v[18:19] neg_lo:[0,1] neg_hi:[0,1]
	s_nop 0
	v_pk_fma_f32 v[18:19], v[30:31], 2.0, v[16:17] op_sel_hi:[1,0,1] neg_lo:[0,0,1] neg_hi:[0,0,1]
	ds_write2_b64 v186, v[18:19], v[16:17] offset1:2
	v_and_or_b32 v16, v55, s8, v137
	v_lshlrev_b32_e32 v187, 3, v16
	v_pk_mul_f32 v[16:17], v[24:25], v[170:171] op_sel:[0,1]
	s_nop 0
	v_pk_fma_f32 v[18:19], v[24:25], v[170:171], v[16:17] op_sel:[0,0,1] op_sel_hi:[1,1,0] neg_lo:[0,0,1] neg_hi:[0,0,1]
	v_pk_fma_f32 v[16:17], v[24:25], v[170:171], v[16:17] op_sel:[0,0,1] op_sel_hi:[1,0,0]
	s_nop 0
	v_mov_b32_e32 v19, v17
	v_pk_add_f32 v[16:17], v[20:21], v[18:19] neg_lo:[0,1] neg_hi:[0,1]
	s_nop 0
	v_pk_fma_f32 v[18:19], v[20:21], 2.0, v[16:17] op_sel_hi:[1,0,1] neg_lo:[0,0,1] neg_hi:[0,0,1]
	ds_write2_b64 v187, v[18:19], v[16:17] offset1:2
	v_and_or_b32 v16, v59, s9, v137
	v_lshlrev_b32_e32 v189, 3, v16
	v_pk_mul_f32 v[16:17], v[26:27], v[170:171] op_sel:[0,1]
	s_nop 0
	v_pk_fma_f32 v[18:19], v[26:27], v[170:171], v[16:17] op_sel:[0,0,1] op_sel_hi:[1,1,0] neg_lo:[0,0,1] neg_hi:[0,0,1]
	v_pk_fma_f32 v[16:17], v[26:27], v[170:171], v[16:17] op_sel:[0,0,1] op_sel_hi:[1,0,0]
	s_nop 0
	v_mov_b32_e32 v19, v17
	v_pk_add_f32 v[16:17], v[22:23], v[18:19] neg_lo:[0,1] neg_hi:[0,1]
	s_nop 0
	v_pk_fma_f32 v[18:19], v[22:23], 2.0, v[16:17] op_sel_hi:[1,0,1] neg_lo:[0,0,1] neg_hi:[0,0,1]
	ds_write2_b64 v189, v[18:19], v[16:17] offset1:2
	v_and_or_b32 v16, v62, s8, v137
	v_lshlrev_b32_e32 v190, 3, v16
	v_pk_mul_f32 v[16:17], v[12:13], v[170:171] op_sel:[0,1]
	s_nop 0
	v_pk_fma_f32 v[18:19], v[12:13], v[170:171], v[16:17] op_sel:[0,0,1] op_sel_hi:[1,1,0] neg_lo:[0,0,1] neg_hi:[0,0,1]
	v_pk_fma_f32 v[12:13], v[12:13], v[170:171], v[16:17] op_sel:[0,0,1] op_sel_hi:[1,0,0]
	s_nop 0
	v_mov_b32_e32 v19, v13
	v_pk_add_f32 v[12:13], v[8:9], v[18:19] neg_lo:[0,1] neg_hi:[0,1]
	s_nop 0
	v_pk_fma_f32 v[8:9], v[8:9], 2.0, v[12:13] op_sel_hi:[1,0,1] neg_lo:[0,0,1] neg_hi:[0,0,1]
	ds_write2_b64 v190, v[8:9], v[12:13] offset1:2
	v_and_or_b32 v8, v193, s8, v137
	v_lshlrev_b32_e32 v191, 3, v8
	v_pk_mul_f32 v[8:9], v[14:15], v[170:171] op_sel:[0,1]
	s_nop 0
	v_pk_fma_f32 v[12:13], v[14:15], v[170:171], v[8:9] op_sel:[0,0,1] op_sel_hi:[1,1,0] neg_lo:[0,0,1] neg_hi:[0,0,1]
	v_pk_fma_f32 v[8:9], v[14:15], v[170:171], v[8:9] op_sel:[0,0,1] op_sel_hi:[1,0,0]
	s_nop 0
	v_mov_b32_e32 v13, v9
	v_pk_add_f32 v[8:9], v[10:11], v[12:13] neg_lo:[0,1] neg_hi:[0,1]
	s_nop 0
	v_pk_fma_f32 v[10:11], v[10:11], 2.0, v[8:9] op_sel_hi:[1,0,1] neg_lo:[0,0,1] neg_hi:[0,0,1]
	ds_write2_b64 v191, v[10:11], v[8:9] offset1:2
	v_and_or_b32 v8, v47, s8, v137
	v_lshlrev_b32_e32 v204, 3, v8
	v_pk_mul_f32 v[8:9], v[4:5], v[170:171] op_sel:[0,1]
	s_movk_i32 s8, 0x7fc
	v_pk_fma_f32 v[10:11], v[4:5], v[170:171], v[8:9] op_sel:[0,0,1] op_sel_hi:[1,1,0] neg_lo:[0,0,1] neg_hi:[0,0,1]
	v_pk_fma_f32 v[4:5], v[4:5], v[170:171], v[8:9] op_sel:[0,0,1] op_sel_hi:[1,0,0]
	s_nop 0
	v_mov_b32_e32 v11, v5
	v_pk_add_f32 v[4:5], v[0:1], v[10:11] neg_lo:[0,1] neg_hi:[0,1]
	s_nop 0
	v_pk_fma_f32 v[0:1], v[0:1], 2.0, v[4:5] op_sel_hi:[1,0,1] neg_lo:[0,0,1] neg_hi:[0,0,1]
	ds_write2_b64 v204, v[0:1], v[4:5] offset1:2
	v_and_or_b32 v0, v199, s8, v137
	v_lshlrev_b32_e32 v205, 3, v0
	v_pk_mul_f32 v[0:1], v[6:7], v[170:171] op_sel:[0,1]
	s_nop 0
	v_pk_fma_f32 v[4:5], v[6:7], v[170:171], v[0:1] op_sel:[0,0,1] op_sel_hi:[1,1,0] neg_lo:[0,0,1] neg_hi:[0,0,1]
	v_pk_fma_f32 v[0:1], v[6:7], v[170:171], v[0:1] op_sel:[0,0,1] op_sel_hi:[1,0,0]
	s_nop 0
	v_mov_b32_e32 v5, v1
	v_pk_add_f32 v[0:1], v[2:3], v[4:5] neg_lo:[0,1] neg_hi:[0,1]
	s_nop 0
	v_pk_fma_f32 v[2:3], v[2:3], 2.0, v[0:1] op_sel_hi:[1,0,1] neg_lo:[0,0,1] neg_hi:[0,0,1]
	ds_write2_b64 v205, v[2:3], v[0:1] offset1:2
	v_lshlrev_b32_e32 v0, 1, v58
	v_accvgpr_write_b32 a0, v0
	s_and_saveexec_b64 s[8:9], s[2:3]
	s_cbranch_execz .LBB0_11
; %bb.10:
	s_movk_i32 s14, 0x4fc
	v_accvgpr_read_b32 v0, a0
	v_and_or_b32 v0, v0, s14, v137
	v_lshlrev_b32_e32 v0, 3, v0
	ds_write2_b64 v0, v[56:57], v[60:61] offset1:2
.LBB0_11:
	s_or_b64 exec, exec, s[8:9]
	v_add_u32_e32 v0, 0x1000, v120
	s_waitcnt lgkmcnt(0)
	; wave barrier
	s_waitcnt lgkmcnt(0)
	ds_read2_b64 v[12:15], v120 offset1:56
	ds_read2_b64 v[36:39], v0 offset0:76 offset1:132
	ds_read2_b64 v[16:19], v120 offset0:112 offset1:168
	;; [unrolled: 1-line block ×3, first 2 shown]
	v_add_u32_e32 v0, 0x400, v120
	ds_read2_b64 v[20:23], v0 offset0:96 offset1:152
	v_add_u32_e32 v0, 0x1800, v120
	v_add_u32_e32 v1, 0x800, v120
	ds_read2_b64 v[32:35], v0 offset0:44 offset1:100
	ds_read2_b64 v[8:11], v1 offset0:80 offset1:136
	;; [unrolled: 1-line block ×4, first 2 shown]
	v_add_u32_e32 v4, 0x2000, v120
	ds_read2_b64 v[4:7], v4 offset0:12 offset1:68
	s_and_saveexec_b64 s[8:9], s[2:3]
	s_cbranch_execz .LBB0_13
; %bb.12:
	ds_read_b64 v[56:57], v120 offset:4480
	ds_read_b64 v[60:61], v120 offset:9184
.LBB0_13:
	s_or_b64 exec, exec, s[8:9]
	v_and_b32_e32 v179, 3, v136
	v_lshlrev_b32_e32 v40, 3, v179
	global_load_dwordx2 v[168:169], v40, s[0:1] offset:16
	s_movk_i32 s8, 0x78
	s_movk_i32 s14, 0x1f8
	;; [unrolled: 1-line block ×4, first 2 shown]
	v_and_or_b32 v41, v45, s8, v179
	v_and_or_b32 v43, v51, s14, v179
	;; [unrolled: 1-line block ×5, first 2 shown]
	s_movk_i32 s9, 0xf8
	v_and_or_b32 v42, v49, s9, v179
	v_and_or_b32 v49, v55, s15, v179
	v_lshlrev_b32_e32 v209, 3, v41
	v_and_or_b32 v55, v193, s15, v179
	s_waitcnt lgkmcnt(0)
	; wave barrier
	s_waitcnt lgkmcnt(0)
	v_lshlrev_b32_e32 v208, 3, v42
	v_lshlrev_b32_e32 v206, 3, v43
	;; [unrolled: 1-line block ×7, first 2 shown]
	s_movk_i32 s8, 0x7f8
	v_mov_b32_e32 v77, 0
	v_mov_b32_e32 v40, v61
	s_waitcnt vmcnt(0)
	v_pk_mul_f32 v[58:59], v[36:37], v[168:169] op_sel:[0,1]
	v_pk_mul_f32 v[62:63], v[38:39], v[168:169] op_sel:[0,1]
	;; [unrolled: 1-line block ×7, first 2 shown]
	v_pk_fma_f32 v[78:79], v[36:37], v[168:169], v[58:59] op_sel:[0,0,1] op_sel_hi:[1,1,0] neg_lo:[0,0,1] neg_hi:[0,0,1]
	v_pk_fma_f32 v[36:37], v[36:37], v[168:169], v[58:59] op_sel:[0,0,1] op_sel_hi:[1,0,0]
	v_pk_fma_f32 v[58:59], v[38:39], v[168:169], v[62:63] op_sel:[0,0,1] op_sel_hi:[1,1,0] neg_lo:[0,0,1] neg_hi:[0,0,1]
	v_pk_fma_f32 v[38:39], v[38:39], v[168:169], v[62:63] op_sel:[0,0,1] op_sel_hi:[1,0,0]
	;; [unrolled: 2-line block ×7, first 2 shown]
	v_pk_mul_f32 v[74:75], v[26:27], v[168:169] op_sel:[0,1]
	v_mov_b32_e32 v79, v37
	v_mov_b32_e32 v71, v25
	v_pk_fma_f32 v[72:73], v[26:27], v[168:169], v[74:75] op_sel:[0,0,1] op_sel_hi:[1,1,0] neg_lo:[0,0,1] neg_hi:[0,0,1]
	v_pk_fma_f32 v[26:27], v[26:27], v[168:169], v[74:75] op_sel:[0,0,1] op_sel_hi:[1,0,0]
	v_mov_b32_e32 v59, v39
	v_mov_b32_e32 v63, v29
	;; [unrolled: 1-line block ×5, first 2 shown]
	v_pk_add_f32 v[24:25], v[12:13], v[78:79] neg_lo:[0,1] neg_hi:[0,1]
	v_pk_add_f32 v[38:39], v[8:9], v[70:71] neg_lo:[0,1] neg_hi:[0,1]
	;; [unrolled: 1-line block ×7, first 2 shown]
	v_pk_fma_f32 v[12:13], v[12:13], 2.0, v[24:25] op_sel_hi:[1,0,1] neg_lo:[0,0,1] neg_hi:[0,0,1]
	v_pk_fma_f32 v[8:9], v[8:9], 2.0, v[38:39] op_sel_hi:[1,0,1] neg_lo:[0,0,1] neg_hi:[0,0,1]
	v_mov_b32_e32 v73, v27
	v_pk_fma_f32 v[14:15], v[14:15], 2.0, v[28:29] op_sel_hi:[1,0,1] neg_lo:[0,0,1] neg_hi:[0,0,1]
	v_pk_fma_f32 v[16:17], v[16:17], 2.0, v[30:31] op_sel_hi:[1,0,1] neg_lo:[0,0,1] neg_hi:[0,0,1]
	;; [unrolled: 1-line block ×5, first 2 shown]
	ds_write2_b64 v209, v[12:13], v[24:25] offset1:4
	ds_write2_b64 v208, v[14:15], v[28:29] offset1:4
	;; [unrolled: 1-line block ×7, first 2 shown]
	v_pk_add_f32 v[8:9], v[10:11], v[72:73] neg_lo:[0,1] neg_hi:[0,1]
	v_pk_mul_f32 v[42:43], v[60:61], v[168:169]
	v_pk_fma_f32 v[10:11], v[10:11], 2.0, v[8:9] op_sel_hi:[1,0,1] neg_lo:[0,0,1] neg_hi:[0,0,1]
	ds_write2_b64 v195, v[10:11], v[8:9] offset1:4
	v_and_or_b32 v8, v47, s15, v179
	v_lshlrev_b32_e32 v211, 3, v8
	v_pk_mul_f32 v[8:9], v[4:5], v[168:169] op_sel:[0,1]
	v_mov_b32_e32 v42, v169
	v_pk_fma_f32 v[10:11], v[4:5], v[168:169], v[8:9] op_sel:[0,0,1] op_sel_hi:[1,1,0] neg_lo:[0,0,1] neg_hi:[0,0,1]
	v_pk_fma_f32 v[4:5], v[4:5], v[168:169], v[8:9] op_sel:[0,0,1] op_sel_hi:[1,0,0]
	v_mov_b32_e32 v76, v43
	v_mov_b32_e32 v11, v5
	v_pk_add_f32 v[4:5], v[0:1], v[10:11] neg_lo:[0,1] neg_hi:[0,1]
	v_pk_mul_f32 v[42:43], v[60:61], v[42:43]
	v_pk_fma_f32 v[0:1], v[0:1], 2.0, v[4:5] op_sel_hi:[1,0,1] neg_lo:[0,0,1] neg_hi:[0,0,1]
	ds_write2_b64 v211, v[0:1], v[4:5] offset1:4
	v_and_or_b32 v0, v199, s8, v179
	v_lshlrev_b32_e32 v212, 3, v0
	v_pk_mul_f32 v[0:1], v[6:7], v[168:169] op_sel:[0,1]
	v_pk_fma_f32 v[60:61], v[60:61], v[168:169], v[76:77] neg_lo:[0,0,1] neg_hi:[0,0,1]
	v_pk_fma_f32 v[4:5], v[6:7], v[168:169], v[0:1] op_sel:[0,0,1] op_sel_hi:[1,1,0] neg_lo:[0,0,1] neg_hi:[0,0,1]
	v_pk_fma_f32 v[0:1], v[6:7], v[168:169], v[0:1] op_sel:[0,0,1] op_sel_hi:[1,0,0]
	v_pk_fma_f32 v[40:41], v[40:41], v[168:169], v[42:43]
	v_mov_b32_e32 v5, v1
	v_mov_b32_e32 v61, v40
	v_pk_add_f32 v[0:1], v[2:3], v[4:5] neg_lo:[0,1] neg_hi:[0,1]
	v_pk_add_f32 v[116:117], v[56:57], v[60:61] neg_lo:[0,1] neg_hi:[0,1]
	v_pk_fma_f32 v[2:3], v[2:3], 2.0, v[0:1] op_sel_hi:[1,0,1] neg_lo:[0,0,1] neg_hi:[0,0,1]
	ds_write2_b64 v212, v[2:3], v[0:1] offset1:4
	s_and_saveexec_b64 s[8:9], s[2:3]
	s_cbranch_execz .LBB0_15
; %bb.14:
	s_movk_i32 s14, 0x4f8
	v_accvgpr_read_b32 v0, a0
	v_and_or_b32 v0, v0, s14, v179
	v_lshlrev_b32_e32 v2, 3, v0
	v_pk_fma_f32 v[0:1], v[56:57], 2.0, v[116:117] op_sel_hi:[1,0,1] neg_lo:[0,0,1] neg_hi:[0,0,1]
	ds_write2_b64 v2, v[0:1], v[116:117] offset1:4
.LBB0_15:
	s_or_b64 exec, exec, s[8:9]
	v_and_b32_e32 v38, 7, v136
	v_lshlrev_b32_e32 v0, 4, v38
	s_waitcnt lgkmcnt(0)
	; wave barrier
	s_waitcnt lgkmcnt(0)
	global_load_dwordx4 v[8:11], v0, s[0:1] offset:48
	ds_read_b64 v[36:37], v120 offset:8960
	v_lshrrev_b32_e32 v4, 3, v136
	v_lshrrev_b32_e32 v5, 3, v46
	;; [unrolled: 1-line block ×7, first 2 shown]
	v_add_u32_e32 v214, 0x800, v120
	v_mul_u32_u24_e32 v39, 24, v4
	v_mul_u32_u24_e32 v40, 24, v5
	;; [unrolled: 1-line block ×7, first 2 shown]
	v_add_u32_e32 v108, 0x1000, v120
	v_add_u32_e32 v215, 0x400, v120
	v_add_u32_e32 v109, 0x1c00, v120
	ds_read2_b64 v[0:3], v120 offset0:112 offset1:168
	v_add_u32_e32 v216, 0x1800, v120
	ds_read2_b64 v[4:7], v214 offset0:80 offset1:136
	ds_read2_b64 v[12:15], v108 offset0:160 offset1:216
	ds_read2_b64 v[16:19], v215 offset0:96 offset1:152
	ds_read2_b64 v[20:23], v109 offset0:112 offset1:168
	ds_read2_b64 v[24:27], v108 offset0:48 offset1:104
	ds_read2_b64 v[28:31], v216 offset0:128 offset1:184
	ds_read2_b64 v[32:35], v214 offset0:192 offset1:248
	v_or_b32_e32 v39, v39, v38
	v_or_b32_e32 v40, v40, v38
	;; [unrolled: 1-line block ×7, first 2 shown]
	v_lshlrev_b32_e32 v210, 3, v39
	v_lshlrev_b32_e32 v207, 3, v40
	v_lshlrev_b32_e32 v200, 3, v42
	v_lshlrev_b32_e32 v197, 3, v43
	v_lshlrev_b32_e32 v192, 3, v38
	s_mov_b32 s8, 0x3f5db3d7
	v_lshlrev_b32_e32 v203, 3, v41
	v_lshlrev_b32_e32 v194, 3, v45
	s_movk_i32 s14, 0xab
	s_mov_b32 s16, 0x3d64c772
	s_mov_b32 s17, 0x3f4a47b2
	;; [unrolled: 1-line block ×7, first 2 shown]
	s_waitcnt vmcnt(0) lgkmcnt(5)
	v_pk_mul_f32 v[38:39], v[14:15], v[8:9] op_sel:[0,1]
	v_mov_b32_e32 v40, v11
	v_pk_mul_f32 v[42:43], v[12:13], v[8:9] op_sel:[0,1]
	v_pk_fma_f32 v[52:53], v[14:15], v[8:9], v[38:39] op_sel:[0,0,1] op_sel_hi:[1,1,0] neg_lo:[0,0,1] neg_hi:[0,0,1]
	v_pk_fma_f32 v[14:15], v[14:15], v[8:9], v[38:39] op_sel:[0,0,1] op_sel_hi:[1,0,0]
	v_pk_mul_f32 v[38:39], v[36:37], v[40:41] op_sel_hi:[1,0]
	v_pk_fma_f32 v[54:55], v[12:13], v[8:9], v[42:43] op_sel:[0,0,1] op_sel_hi:[1,1,0] neg_lo:[0,0,1] neg_hi:[0,0,1]
	v_pk_fma_f32 v[12:13], v[12:13], v[8:9], v[42:43] op_sel:[0,0,1] op_sel_hi:[1,0,0]
	s_waitcnt lgkmcnt(3)
	v_pk_mul_f32 v[42:43], v[22:23], v[40:41] op_sel_hi:[1,0]
	v_mov_b32_e32 v53, v15
	v_pk_fma_f32 v[60:61], v[36:37], v[10:11], v[38:39] op_sel:[0,0,1] op_sel_hi:[1,1,0] neg_lo:[0,0,1] neg_hi:[0,0,1]
	v_pk_fma_f32 v[14:15], v[36:37], v[10:11], v[38:39] op_sel:[0,0,1] op_sel_hi:[1,0,0]
	v_mov_b32_e32 v55, v13
	v_pk_fma_f32 v[36:37], v[22:23], v[10:11], v[42:43] op_sel:[0,0,1] op_sel_hi:[1,1,0] neg_lo:[0,0,1] neg_hi:[0,0,1]
	v_pk_fma_f32 v[12:13], v[22:23], v[10:11], v[42:43] op_sel:[0,0,1] op_sel_hi:[1,0,0]
	s_waitcnt lgkmcnt(2)
	v_pk_mul_f32 v[50:51], v[24:25], v[8:9] op_sel:[0,1]
	v_mov_b32_e32 v37, v13
	v_pk_add_f32 v[12:13], v[18:19], v[54:55]
	v_pk_fma_f32 v[58:59], v[24:25], v[8:9], v[50:51] op_sel:[0,0,1] op_sel_hi:[1,1,0] neg_lo:[0,0,1] neg_hi:[0,0,1]
	v_pk_fma_f32 v[24:25], v[24:25], v[8:9], v[50:51] op_sel:[0,0,1] op_sel_hi:[1,0,0]
	s_waitcnt lgkmcnt(1)
	v_pk_mul_f32 v[50:51], v[30:31], v[40:41] op_sel_hi:[1,0]
	v_pk_add_f32 v[38:39], v[12:13], v[36:37]
	s_waitcnt lgkmcnt(0)
	v_pk_mul_f32 v[12:13], v[34:35], v[8:9] op_sel:[0,1]
	v_pk_mul_f32 v[48:49], v[26:27], v[8:9] op_sel:[0,1]
	v_mov_b32_e32 v59, v25
	v_pk_fma_f32 v[24:25], v[30:31], v[10:11], v[50:51] op_sel:[0,0,1] op_sel_hi:[1,1,0] neg_lo:[0,0,1] neg_hi:[0,0,1]
	v_pk_fma_f32 v[22:23], v[30:31], v[10:11], v[50:51] op_sel:[0,0,1] op_sel_hi:[1,0,0]
	v_pk_fma_f32 v[50:51], v[34:35], v[8:9], v[12:13] op_sel:[0,0,1] op_sel_hi:[1,1,0] neg_lo:[0,0,1] neg_hi:[0,0,1]
	v_pk_fma_f32 v[12:13], v[34:35], v[8:9], v[12:13] op_sel:[0,0,1] op_sel_hi:[1,0,0]
	;; [unrolled: 2-line block ×3, first 2 shown]
	v_pk_mul_f32 v[48:49], v[20:21], v[40:41] op_sel_hi:[1,0]
	v_mov_b32_e32 v51, v13
	v_pk_mul_f32 v[12:13], v[28:29], v[40:41] op_sel_hi:[1,0]
	v_mov_b32_e32 v57, v27
	v_pk_fma_f32 v[26:27], v[20:21], v[10:11], v[48:49] op_sel:[0,0,1] op_sel_hi:[1,1,0] neg_lo:[0,0,1] neg_hi:[0,0,1]
	v_pk_fma_f32 v[20:21], v[20:21], v[10:11], v[48:49] op_sel:[0,0,1] op_sel_hi:[1,0,0]
	v_pk_fma_f32 v[34:35], v[28:29], v[10:11], v[12:13] op_sel:[0,0,1] op_sel_hi:[1,1,0] neg_lo:[0,0,1] neg_hi:[0,0,1]
	v_pk_fma_f32 v[12:13], v[28:29], v[10:11], v[12:13] op_sel:[0,0,1] op_sel_hi:[1,0,0]
	v_mov_b32_e32 v61, v15
	v_pk_add_f32 v[14:15], v[4:5], v[52:53]
	v_mov_b32_e32 v27, v21
	v_pk_add_f32 v[20:21], v[16:17], v[56:57]
	;; [unrolled: 2-line block ×4, first 2 shown]
	v_pk_add_f32 v[30:31], v[14:15], v[60:61]
	v_pk_add_f32 v[42:43], v[20:21], v[26:27]
	;; [unrolled: 1-line block ×4, first 2 shown]
	ds_read2_b64 v[12:15], v120 offset1:56
	ds_read2_b64 v[20:23], v216 offset0:16 offset1:72
	v_pk_mul_f32 v[62:63], v[32:33], v[8:9] op_sel:[0,1]
	s_waitcnt lgkmcnt(0)
	v_pk_fma_f32 v[64:65], v[32:33], v[8:9], v[62:63] op_sel:[0,0,1] op_sel_hi:[1,1,0] neg_lo:[0,0,1] neg_hi:[0,0,1]
	v_pk_fma_f32 v[32:33], v[32:33], v[8:9], v[62:63] op_sel:[0,0,1] op_sel_hi:[1,0,0]
	; wave barrier
	s_nop 0
	v_mov_b32_e32 v65, v33
	v_pk_mul_f32 v[32:33], v[22:23], v[40:41] op_sel_hi:[1,0]
	s_nop 0
	v_pk_fma_f32 v[62:63], v[22:23], v[10:11], v[32:33] op_sel:[0,0,1] op_sel_hi:[1,1,0] neg_lo:[0,0,1] neg_hi:[0,0,1]
	v_pk_fma_f32 v[22:23], v[22:23], v[10:11], v[32:33] op_sel:[0,0,1] op_sel_hi:[1,0,0]
	v_pk_mul_f32 v[32:33], v[6:7], v[8:9] op_sel:[0,1]
	v_mov_b32_e32 v63, v23
	v_pk_fma_f32 v[66:67], v[6:7], v[8:9], v[32:33] op_sel:[0,0,1] op_sel_hi:[1,1,0] neg_lo:[0,0,1] neg_hi:[0,0,1]
	v_pk_fma_f32 v[6:7], v[6:7], v[8:9], v[32:33] op_sel:[0,0,1] op_sel_hi:[1,0,0]
	v_pk_add_f32 v[22:23], v[14:15], v[64:65]
	v_mov_b32_e32 v67, v7
	v_pk_mul_f32 v[6:7], v[20:21], v[40:41] op_sel_hi:[1,0]
	v_pk_add_f32 v[22:23], v[22:23], v[62:63]
	v_pk_fma_f32 v[32:33], v[20:21], v[10:11], v[6:7] op_sel:[0,0,1] op_sel_hi:[1,1,0] neg_lo:[0,0,1] neg_hi:[0,0,1]
	v_pk_fma_f32 v[6:7], v[20:21], v[10:11], v[6:7] op_sel:[0,0,1] op_sel_hi:[1,0,0]
	s_nop 0
	v_mov_b32_e32 v33, v7
	v_pk_add_f32 v[20:21], v[66:67], v[32:33]
	v_pk_add_f32 v[6:7], v[12:13], v[66:67]
	v_pk_fma_f32 v[12:13], v[20:21], 0.5, v[12:13] op_sel_hi:[1,0,1] neg_lo:[1,0,0] neg_hi:[1,0,0]
	v_pk_add_f32 v[20:21], v[66:67], v[32:33] neg_lo:[0,1] neg_hi:[0,1]
	v_pk_add_f32 v[6:7], v[6:7], v[32:33]
	v_pk_mul_f32 v[20:21], v[20:21], s[8:9] op_sel_hi:[1,0]
	s_nop 0
	v_pk_add_f32 v[32:33], v[12:13], v[20:21] op_sel:[0,1] op_sel_hi:[1,0]
	v_pk_add_f32 v[12:13], v[12:13], v[20:21] op_sel:[0,1] op_sel_hi:[1,0] neg_lo:[0,1] neg_hi:[0,1]
	v_mov_b32_e32 v20, v32
	v_mov_b32_e32 v21, v13
	;; [unrolled: 1-line block ×3, first 2 shown]
	ds_write2_b64 v210, v[6:7], v[20:21] offset1:8
	ds_write_b64 v210, v[12:13] offset:128
	v_pk_add_f32 v[6:7], v[64:65], v[62:63]
	v_pk_add_f32 v[12:13], v[64:65], v[62:63] neg_lo:[0,1] neg_hi:[0,1]
	v_pk_fma_f32 v[6:7], v[6:7], 0.5, v[14:15] op_sel_hi:[1,0,1] neg_lo:[1,0,0] neg_hi:[1,0,0]
	v_pk_mul_f32 v[12:13], v[12:13], s[8:9] op_sel_hi:[1,0]
	s_nop 0
	v_pk_add_f32 v[14:15], v[6:7], v[12:13] op_sel:[0,1] op_sel_hi:[1,0]
	v_pk_add_f32 v[6:7], v[6:7], v[12:13] op_sel:[0,1] op_sel_hi:[1,0] neg_lo:[0,1] neg_hi:[0,1]
	v_mov_b32_e32 v12, v14
	v_mov_b32_e32 v13, v7
	v_mov_b32_e32 v7, v15
	ds_write_b64 v207, v[6:7] offset:128
	v_pk_add_f32 v[6:7], v[50:51], v[34:35]
	ds_write2_b64 v207, v[22:23], v[12:13] offset1:8
	v_pk_fma_f32 v[0:1], v[6:7], 0.5, v[0:1] op_sel_hi:[1,0,1] neg_lo:[1,0,0] neg_hi:[1,0,0]
	v_pk_add_f32 v[6:7], v[50:51], v[34:35] neg_lo:[0,1] neg_hi:[0,1]
	s_nop 0
	v_pk_mul_f32 v[6:7], v[6:7], s[8:9] op_sel_hi:[1,0]
	s_nop 0
	v_pk_add_f32 v[12:13], v[0:1], v[6:7] op_sel:[0,1] op_sel_hi:[1,0]
	v_pk_add_f32 v[0:1], v[0:1], v[6:7] op_sel:[0,1] op_sel_hi:[1,0] neg_lo:[0,1] neg_hi:[0,1]
	v_mov_b32_e32 v6, v12
	v_mov_b32_e32 v7, v1
	;; [unrolled: 1-line block ×3, first 2 shown]
	ds_write_b64 v203, v[0:1] offset:128
	v_pk_add_f32 v[0:1], v[58:59], v[24:25]
	ds_write2_b64 v203, v[28:29], v[6:7] offset1:8
	v_pk_fma_f32 v[0:1], v[0:1], 0.5, v[2:3] op_sel_hi:[1,0,1] neg_lo:[1,0,0] neg_hi:[1,0,0]
	v_pk_add_f32 v[2:3], v[58:59], v[24:25] neg_lo:[0,1] neg_hi:[0,1]
	s_nop 0
	v_pk_mul_f32 v[2:3], v[2:3], s[8:9] op_sel_hi:[1,0]
	s_nop 0
	v_pk_add_f32 v[6:7], v[0:1], v[2:3] op_sel:[0,1] op_sel_hi:[1,0]
	v_pk_add_f32 v[0:1], v[0:1], v[2:3] op_sel:[0,1] op_sel_hi:[1,0] neg_lo:[0,1] neg_hi:[0,1]
	v_mov_b32_e32 v2, v6
	v_mov_b32_e32 v3, v1
	v_mov_b32_e32 v1, v7
	ds_write2_b64 v200, v[48:49], v[2:3] offset1:8
	ds_write_b64 v200, v[0:1] offset:128
	v_pk_add_f32 v[0:1], v[56:57], v[26:27]
	v_pk_add_f32 v[2:3], v[56:57], v[26:27] neg_lo:[0,1] neg_hi:[0,1]
	v_pk_fma_f32 v[0:1], v[0:1], 0.5, v[16:17] op_sel_hi:[1,0,1] neg_lo:[1,0,0] neg_hi:[1,0,0]
	v_pk_mul_f32 v[2:3], v[2:3], s[8:9] op_sel_hi:[1,0]
	s_nop 0
	v_pk_add_f32 v[6:7], v[0:1], v[2:3] op_sel:[0,1] op_sel_hi:[1,0]
	v_pk_add_f32 v[0:1], v[0:1], v[2:3] op_sel:[0,1] op_sel_hi:[1,0] neg_lo:[0,1] neg_hi:[0,1]
	v_mov_b32_e32 v2, v6
	v_mov_b32_e32 v3, v1
	v_mov_b32_e32 v1, v7
	ds_write2_b64 v197, v[42:43], v[2:3] offset1:8
	ds_write_b64 v197, v[0:1] offset:128
	v_pk_add_f32 v[0:1], v[54:55], v[36:37]
	v_pk_add_f32 v[2:3], v[54:55], v[36:37] neg_lo:[0,1] neg_hi:[0,1]
	v_pk_fma_f32 v[0:1], v[0:1], 0.5, v[18:19] op_sel_hi:[1,0,1] neg_lo:[1,0,0] neg_hi:[1,0,0]
	;; [unrolled: 12-line block ×3, first 2 shown]
	v_pk_mul_f32 v[2:3], v[2:3], s[8:9] op_sel_hi:[1,0]
	s_nop 0
	v_pk_add_f32 v[4:5], v[0:1], v[2:3] op_sel:[0,1] op_sel_hi:[1,0]
	v_pk_add_f32 v[0:1], v[0:1], v[2:3] op_sel:[0,1] op_sel_hi:[1,0] neg_lo:[0,1] neg_hi:[0,1]
	v_mov_b32_e32 v2, v4
	v_mov_b32_e32 v3, v1
	;; [unrolled: 1-line block ×3, first 2 shown]
	ds_write_b64 v192, v[0:1] offset:128
	v_mul_lo_u16_sdwa v0, v136, s14 dst_sel:DWORD dst_unused:UNUSED_PAD src0_sel:BYTE_0 src1_sel:DWORD
	v_lshrrev_b16_e32 v56, 12, v0
	v_mul_lo_u16_e32 v0, 24, v56
	v_sub_u16_e32 v0, v136, v0
	v_and_b32_e32 v57, 0xff, v0
	v_mad_u64_u32 v[0:1], s[8:9], v57, 48, s[0:1]
	ds_write2_b64 v192, v[30:31], v[2:3] offset1:8
	s_waitcnt lgkmcnt(0)
	; wave barrier
	s_waitcnt lgkmcnt(0)
	global_load_dwordx4 v[20:23], v[0:1], off offset:208
	global_load_dwordx4 v[32:35], v[0:1], off offset:192
	;; [unrolled: 1-line block ×3, first 2 shown]
	v_mul_lo_u16_sdwa v0, v46, s14 dst_sel:DWORD dst_unused:UNUSED_PAD src0_sel:BYTE_0 src1_sel:DWORD
	v_lshrrev_b16_e32 v58, 12, v0
	v_mul_lo_u16_e32 v0, 24, v58
	v_sub_u16_e32 v0, v46, v0
	v_and_b32_e32 v59, 0xff, v0
	v_mad_u64_u32 v[0:1], s[8:9], v59, 48, s[0:1]
	global_load_dwordx4 v[12:15], v[0:1], off offset:208
	global_load_dwordx4 v[36:39], v[0:1], off offset:192
	;; [unrolled: 1-line block ×3, first 2 shown]
	v_mul_lo_u16_sdwa v0, v44, s14 dst_sel:DWORD dst_unused:UNUSED_PAD src0_sel:BYTE_0 src1_sel:DWORD
	v_lshrrev_b16_e32 v60, 12, v0
	v_mul_lo_u16_e32 v0, 24, v60
	v_sub_u16_e32 v0, v44, v0
	v_and_b32_e32 v61, 0xff, v0
	v_mad_u64_u32 v[0:1], s[8:9], v61, 48, s[0:1]
	global_load_dwordx4 v[40:43], v[0:1], off offset:192
	global_load_dwordx4 v[4:7], v[0:1], off offset:176
	s_nop 0
	global_load_dwordx4 v[0:3], v[0:1], off offset:208
	ds_read2_b64 v[48:51], v214 offset0:80 offset1:136
	ds_read2_b64 v[44:47], v214 offset0:192 offset1:248
	ds_read2_b64 v[52:55], v108 offset0:160 offset1:216
	ds_read2_b64 v[24:27], v216 offset0:16 offset1:72
	ds_read2_b64 v[98:101], v108 offset0:48 offset1:104
	ds_read2_b64 v[102:105], v216 offset0:128 offset1:184
	ds_read2_b64 v[110:113], v215 offset0:96 offset1:152
	v_mul_u32_u24_e32 v56, 0xa8, v56
	v_add_lshl_u32 v213, v56, v57, 3
	v_mul_u32_u24_e32 v56, 0xa8, v58
	v_add_lshl_u32 v188, v56, v59, 3
	;; [unrolled: 2-line block ×3, first 2 shown]
	ds_read2_b64 v[218:221], v109 offset0:112 offset1:168
	ds_read2_b64 v[56:59], v120 offset0:112 offset1:168
	s_mov_b32 s8, 0x3eae86e6
	s_mov_b32 s9, 0xbf08b237
	;; [unrolled: 1-line block ×5, first 2 shown]
	s_waitcnt vmcnt(7) lgkmcnt(6)
	v_mul_f32_e32 v95, v52, v35
	s_waitcnt vmcnt(6)
	v_mul_f32_e32 v62, v49, v31
	v_fma_f32 v90, v48, v30, -v62
	s_waitcnt lgkmcnt(5)
	v_mul_f32_e32 v62, v27, v21
	v_fma_f32 v88, v26, v20, -v62
	v_mov_b32_e32 v234, v30
	v_mov_b32_e32 v235, v34
	v_mul_f32_e32 v91, v47, v32
	s_waitcnt vmcnt(4)
	v_mul_f32_e32 v223, v55, v38
	s_waitcnt vmcnt(3)
	v_mul_f32_e32 v62, v51, v19
	v_fma_f32 v106, v50, v18, -v62
	s_waitcnt lgkmcnt(3)
	v_mul_f32_e32 v62, v103, v13
	v_fma_f32 v118, v102, v12, -v62
	v_mul_f32_e32 v225, v54, v39
	v_mov_b32_e32 v226, v18
	s_waitcnt vmcnt(2)
	v_mul_f32_e32 v67, v25, v42
	s_waitcnt vmcnt(1) lgkmcnt(2)
	v_pk_mul_f32 v[68:69], v[112:113], v[4:5] op_sel_hi:[1,0]
	s_waitcnt vmcnt(0)
	v_mul_f32_e32 v64, v105, v1
	v_fma_f32 v70, v104, v0, -v64
	ds_read_b64 v[64:65], v120 offset:8960
	v_mul_f32_e32 v73, v24, v43
	v_mul_f32_e32 v62, v45, v7
	v_pk_fma_f32 v[74:75], v[112:113], v[4:5], v[68:69] op_sel:[0,1,1] op_sel_hi:[1,1,0]
	v_pk_fma_f32 v[78:79], v[112:113], v[4:5], v[68:69] op_sel:[0,1,1] op_sel_hi:[1,1,0] neg_lo:[1,0,0] neg_hi:[1,0,0]
	v_mov_b32_e32 v68, v45
	v_mov_b32_e32 v69, v24
	;; [unrolled: 1-line block ×7, first 2 shown]
	v_pk_mul_f32 v[24:25], v[44:45], v[24:25]
	v_fma_f32 v62, v44, v6, -v62
	v_pk_fma_f32 v[82:83], v[68:69], v[6:7], v[24:25]
	v_pk_fma_f32 v[80:81], v[68:69], v[80:81], v[24:25] neg_lo:[0,0,1] neg_hi:[0,0,1]
	v_mov_b32_e32 v24, v105
	v_mov_b32_e32 v105, v101
	;; [unrolled: 1-line block ×7, first 2 shown]
	v_pk_mul_f32 v[68:69], v[104:105], v[68:69]
	v_mul_f32_e32 v63, v101, v40
	v_pk_fma_f32 v[84:85], v[24:25], v[0:1], v[68:69]
	v_pk_fma_f32 v[86:87], v[24:25], v[44:45], v[68:69] neg_lo:[0,0,1] neg_hi:[0,0,1]
	s_waitcnt lgkmcnt(0)
	v_pk_mul_f32 v[24:25], v[64:65], v[2:3] op_sel_hi:[1,0]
	v_mov_b32_e32 v44, v3
	v_pk_fma_f32 v[96:97], v[64:65], v[44:45], v[24:25] op_sel:[0,0,1] op_sel_hi:[1,0,0] neg_lo:[1,0,0] neg_hi:[1,0,0]
	v_mul_f32_e32 v71, v100, v41
	v_pk_fma_f32 v[68:69], v[64:65], v[44:45], v[24:25] op_sel:[0,0,1] op_sel_hi:[1,0,0]
	v_mov_b32_e32 v66, v79
	v_mov_b32_e32 v72, v97
	v_pk_add_f32 v[60:61], v[62:63], v[70:71]
	v_mov_b32_e32 v75, v79
	v_mov_b32_e32 v83, v81
	;; [unrolled: 1-line block ×4, first 2 shown]
	v_pk_add_f32 v[66:67], v[66:67], v[72:73]
	v_pk_mul_f32 v[100:101], v[110:111], v[16:17] op_sel_hi:[1,0]
	v_pk_add_f32 v[24:25], v[74:75], v[68:69]
	v_pk_add_f32 v[44:45], v[82:83], v[84:85]
	v_mov_b32_e32 v72, v67
	v_mov_b32_e32 v73, v62
	;; [unrolled: 1-line block ×4, first 2 shown]
	v_pk_fma_f32 v[104:105], v[110:111], v[16:17], v[100:101] op_sel:[0,1,1] op_sel_hi:[1,1,0]
	v_pk_fma_f32 v[110:111], v[110:111], v[16:17], v[100:101] op_sel:[0,1,1] op_sel_hi:[1,1,0] neg_lo:[1,0,0] neg_hi:[1,0,0]
	v_mov_b32_e32 v100, v51
	v_mov_b32_e32 v101, v54
	;; [unrolled: 1-line block ×5, first 2 shown]
	v_pk_add_f32 v[64:65], v[74:75], v[68:69] neg_lo:[0,1] neg_hi:[0,1]
	v_pk_add_f32 v[68:69], v[82:83], v[84:85] neg_lo:[0,1] neg_hi:[0,1]
	;; [unrolled: 1-line block ×3, first 2 shown]
	v_mov_b32_e32 v84, v87
	v_mov_b32_e32 v85, v44
	;; [unrolled: 1-line block ×5, first 2 shown]
	v_pk_mul_f32 v[50:51], v[50:51], v[54:55]
	v_mov_b32_e32 v70, v74
	v_mov_b32_e32 v71, v65
	v_pk_add_f32 v[82:83], v[60:61], v[66:67]
	v_pk_add_f32 v[80:81], v[84:85], v[80:81]
	v_pk_fma_f32 v[226:227], v[100:101], v[226:227], v[50:51] neg_lo:[0,0,1] neg_hi:[0,0,1]
	v_pk_fma_f32 v[50:51], v[100:101], v[18:19], v[50:51]
	v_mov_b32_e32 v54, v103
	v_mov_b32_e32 v103, v99
	;; [unrolled: 1-line block ×4, first 2 shown]
	v_mul_f32_e32 v107, v99, v36
	v_mul_f32_e32 v119, v98, v37
	v_mov_b32_e32 v62, v64
	v_mov_b32_e32 v63, v69
	v_pk_add_f32 v[70:71], v[70:71], v[68:69] neg_lo:[0,1] neg_hi:[0,1]
	v_mov_b32_e32 v84, v80
	v_mov_b32_e32 v85, v24
	;; [unrolled: 1-line block ×6, first 2 shown]
	v_pk_mul_f32 v[100:101], v[102:103], v[100:101]
	v_pk_add_f32 v[78:79], v[62:63], v[74:75] neg_lo:[0,1] neg_hi:[0,1]
	v_pk_mul_f32 v[72:73], v[70:71], s[22:23]
	v_pk_add_f32 v[70:71], v[68:69], v[74:75]
	v_pk_add_f32 v[84:85], v[84:85], v[60:61] neg_lo:[0,1] neg_hi:[0,1]
	v_mov_b32_e32 v67, v83
	v_mov_b32_e32 v86, v80
	;; [unrolled: 1-line block ×3, first 2 shown]
	v_pk_add_f32 v[80:81], v[82:83], v[80:81]
	v_pk_fma_f32 v[102:103], v[54:55], v[12:13], v[100:101]
	v_pk_fma_f32 v[228:229], v[54:55], v[98:99], v[100:101] neg_lo:[0,0,1] neg_hi:[0,0,1]
	v_pk_mul_f32 v[54:55], v[220:221], v[14:15] op_sel_hi:[1,0]
	v_mov_b32_e32 v74, v15
	v_pk_add_f32 v[96:97], v[66:67], v[86:87] neg_lo:[0,1] neg_hi:[0,1]
	v_pk_add_f32 v[86:87], v[56:57], v[80:81]
	v_pk_mul_f32 v[82:83], v[84:85], s[16:17]
	v_pk_fma_f32 v[98:99], v[220:221], v[74:75], v[54:55] op_sel:[0,0,1] op_sel_hi:[1,0,0]
	v_pk_fma_f32 v[220:221], v[220:221], v[74:75], v[54:55] op_sel:[0,0,1] op_sel_hi:[1,0,0] neg_lo:[1,0,0] neg_hi:[1,0,0]
	v_pk_mul_f32 v[62:63], v[78:79], s[8:9]
	v_pk_add_f32 v[70:71], v[70:71], v[64:65]
	v_pk_fma_f32 v[80:81], v[80:81], s[20:21], v[86:87] op_sel_hi:[1,0,1] neg_lo:[1,0,0] neg_hi:[1,0,0]
	v_pk_fma_f32 v[56:57], v[96:97], s[18:19], v[82:83]
	v_pk_fma_f32 v[78:79], v[78:79], s[8:9], v[72:73]
	v_mov_b32_e32 v105, v111
	v_mov_b32_e32 v51, v227
	;; [unrolled: 1-line block ×4, first 2 shown]
	v_pk_mul_f32 v[84:85], v[96:97], s[18:19]
	v_pk_add_f32 v[96:97], v[56:57], v[80:81]
	v_pk_fma_f32 v[78:79], v[70:71], s[14:15], v[78:79] op_sel_hi:[1,0,1]
	v_pk_add_f32 v[54:55], v[104:105], v[98:99]
	v_pk_add_f32 v[100:101], v[104:105], v[98:99] neg_lo:[0,1] neg_hi:[0,1]
	v_pk_add_f32 v[98:99], v[50:51], v[102:103]
	v_mov_b32_e32 v222, v111
	v_mov_b32_e32 v224, v221
	v_pk_add_f32 v[56:57], v[96:97], v[78:79]
	v_pk_add_f32 v[78:79], v[96:97], v[78:79] neg_lo:[0,1] neg_hi:[0,1]
	v_pk_add_f32 v[96:97], v[106:107], v[118:119]
	v_pk_add_f32 v[104:105], v[50:51], v[102:103] neg_lo:[0,1] neg_hi:[0,1]
	v_pk_add_f32 v[102:103], v[222:223], v[224:225]
	v_mov_b32_e32 v228, v229
	v_mov_b32_e32 v229, v98
	v_mov_b32_e32 v226, v227
	v_mov_b32_e32 v227, v54
	v_pk_add_f32 v[230:231], v[96:97], v[102:103]
	v_pk_add_f32 v[226:227], v[228:229], v[226:227]
	v_mov_b32_e32 v50, v103
	v_mov_b32_e32 v51, v106
	;; [unrolled: 1-line block ×10, first 2 shown]
	v_pk_add_f32 v[226:227], v[230:231], v[226:227]
	v_mov_b32_e32 v230, v31
	v_mov_b32_e32 v231, v35
	v_pk_mul_f32 v[48:49], v[48:49], v[230:231]
	v_mov_b32_e32 v230, v27
	v_mov_b32_e32 v27, v47
	v_pk_fma_f32 v[234:235], v[228:229], v[234:235], v[48:49] neg_lo:[0,0,1] neg_hi:[0,0,1]
	v_pk_fma_f32 v[48:49], v[228:229], v[30:31], v[48:49]
	v_mov_b32_e32 v228, v21
	v_mov_b32_e32 v229, v33
	;; [unrolled: 1-line block ×3, first 2 shown]
	v_pk_mul_f32 v[118:119], v[218:219], v[22:23] op_sel_hi:[1,0]
	v_mov_b32_e32 v74, v23
	v_pk_mul_f32 v[222:223], v[58:59], v[28:29] op_sel_hi:[1,0]
	v_mov_b32_e32 v231, v46
	v_pk_mul_f32 v[26:27], v[26:27], v[228:229]
	v_mov_b32_e32 v228, v20
	v_mov_b32_e32 v229, v32
	v_pk_fma_f32 v[220:221], v[218:219], v[74:75], v[118:119] op_sel:[0,0,1] op_sel_hi:[1,0,0]
	v_pk_fma_f32 v[118:119], v[218:219], v[74:75], v[118:119] op_sel:[0,0,1] op_sel_hi:[1,0,0] neg_lo:[1,0,0] neg_hi:[1,0,0]
	v_pk_fma_f32 v[224:225], v[58:59], v[28:29], v[222:223] op_sel:[0,1,1] op_sel_hi:[1,1,0]
	v_pk_fma_f32 v[58:59], v[58:59], v[28:29], v[222:223] op_sel:[0,1,1] op_sel_hi:[1,1,0] neg_lo:[1,0,0] neg_hi:[1,0,0]
	v_pk_fma_f32 v[236:237], v[230:231], v[20:21], v[26:27]
	v_pk_fma_f32 v[26:27], v[230:231], v[228:229], v[26:27] neg_lo:[0,0,1] neg_hi:[0,0,1]
	v_mul_f32_e32 v89, v46, v33
	v_mul_f32_e32 v93, v53, v34
	v_mov_b32_e32 v225, v59
	v_mov_b32_e32 v49, v235
	v_mov_b32_e32 v237, v27
	v_mov_b32_e32 v221, v119
	v_mov_b32_e32 v92, v59
	v_mov_b32_e32 v94, v119
	ds_read2_b64 v[112:115], v120 offset1:56
	v_pk_add_f32 v[46:47], v[90:91], v[88:89]
	v_pk_add_f32 v[228:229], v[224:225], v[220:221]
	v_pk_add_f32 v[220:221], v[224:225], v[220:221] neg_lo:[0,1] neg_hi:[0,1]
	v_pk_add_f32 v[224:225], v[48:49], v[236:237]
	v_pk_add_f32 v[58:59], v[92:93], v[94:95]
	v_mov_b32_e32 v93, v90
	v_mov_b32_e32 v92, v59
	;; [unrolled: 1-line block ×8, first 2 shown]
	v_pk_add_f32 v[88:89], v[92:93], v[90:91] neg_lo:[0,1] neg_hi:[0,1]
	v_pk_add_f32 v[118:119], v[46:47], v[58:59]
	v_pk_add_f32 v[26:27], v[26:27], v[230:231]
	v_pk_add_f32 v[48:49], v[48:49], v[236:237] neg_lo:[0,1] neg_hi:[0,1]
	v_mov_b32_e32 v92, v88
	v_mov_b32_e32 v93, v221
	;; [unrolled: 1-line block ×6, first 2 shown]
	v_pk_add_f32 v[92:93], v[92:93], v[48:49] neg_lo:[0,1] neg_hi:[0,1]
	v_pk_add_f32 v[230:231], v[230:231], v[46:47] neg_lo:[0,1] neg_hi:[0,1]
	v_mov_b32_e32 v59, v119
	v_mov_b32_e32 v234, v26
	;; [unrolled: 1-line block ×3, first 2 shown]
	v_pk_add_f32 v[26:27], v[118:119], v[26:27]
	v_pk_add_f32 v[90:91], v[90:91], v[88:89] neg_lo:[0,1] neg_hi:[0,1]
	v_pk_mul_f32 v[92:93], v[92:93], s[22:23]
	v_pk_add_f32 v[94:95], v[48:49], v[88:89]
	v_pk_add_f32 v[234:235], v[58:59], v[234:235] neg_lo:[0,1] neg_hi:[0,1]
	s_waitcnt lgkmcnt(0)
	v_pk_add_f32 v[112:113], v[112:113], v[26:27]
	v_pk_mul_f32 v[118:119], v[230:231], s[16:17]
	v_pk_add_f32 v[106:107], v[50:51], v[106:107] neg_lo:[0,1] neg_hi:[0,1]
	v_pk_add_f32 v[94:95], v[94:95], v[220:221]
	v_pk_fma_f32 v[26:27], v[26:27], s[20:21], v[112:113] op_sel_hi:[1,0,1] neg_lo:[1,0,0] neg_hi:[1,0,0]
	v_pk_fma_f32 v[230:231], v[234:235], s[18:19], v[118:119]
	v_pk_fma_f32 v[236:237], v[90:91], s[8:9], v[92:93]
	v_mov_b32_e32 v218, v106
	v_mov_b32_e32 v219, v101
	;; [unrolled: 1-line block ×3, first 2 shown]
	v_pk_add_f32 v[230:231], v[230:231], v[26:27]
	v_pk_fma_f32 v[236:237], v[94:95], s[14:15], v[236:237] op_sel_hi:[1,0,1]
	v_mov_b32_e32 v50, v100
	v_mov_b32_e32 v51, v105
	v_pk_add_f32 v[218:219], v[218:219], v[104:105] neg_lo:[0,1] neg_hi:[0,1]
	v_pk_add_f32 v[52:53], v[52:53], v[96:97] neg_lo:[0,1] neg_hi:[0,1]
	v_mov_b32_e32 v233, v98
	v_pk_add_f32 v[238:239], v[230:231], v[236:237]
	v_pk_add_f32 v[230:231], v[230:231], v[236:237] neg_lo:[0,1] neg_hi:[0,1]
	v_pk_add_f32 v[110:111], v[50:51], v[106:107] neg_lo:[0,1] neg_hi:[0,1]
	v_pk_mul_f32 v[218:219], v[218:219], s[22:23]
	v_pk_add_f32 v[222:223], v[104:105], v[106:107]
	v_pk_add_f32 v[232:233], v[102:103], v[232:233] neg_lo:[0,1] neg_hi:[0,1]
	v_pk_add_f32 v[114:115], v[114:115], v[226:227]
	v_pk_mul_f32 v[52:53], v[52:53], s[16:17]
	v_mov_b32_e32 v236, v238
	v_mov_b32_e32 v237, v231
	v_pk_mul_f32 v[50:51], v[110:111], s[8:9]
	v_pk_add_f32 v[222:223], v[222:223], v[100:101]
	s_waitcnt lgkmcnt(0)
	; wave barrier
	ds_write2_b64 v213, v[112:113], v[236:237] offset1:24
	v_pk_mul_f32 v[112:113], v[232:233], s[18:19]
	v_pk_fma_f32 v[226:227], v[226:227], s[20:21], v[114:115] op_sel_hi:[1,0,1] neg_lo:[1,0,0] neg_hi:[1,0,0]
	v_pk_fma_f32 v[232:233], v[232:233], s[18:19], v[52:53]
	v_pk_fma_f32 v[110:111], v[110:111], s[8:9], v[218:219]
	v_pk_add_f32 v[232:233], v[232:233], v[226:227]
	v_pk_fma_f32 v[110:111], v[222:223], s[14:15], v[110:111] op_sel_hi:[1,0,1]
	v_pk_mul_f32 v[90:91], v[90:91], s[8:9]
	v_pk_add_f32 v[236:237], v[232:233], v[110:111]
	v_pk_add_f32 v[110:111], v[232:233], v[110:111] neg_lo:[0,1] neg_hi:[0,1]
	v_pk_mul_f32 v[232:233], v[234:235], s[18:19]
	v_mov_b32_e32 v49, v89
	v_mov_b32_e32 v47, v224
	;; [unrolled: 1-line block ×3, first 2 shown]
	v_pk_add_f32 v[48:49], v[48:49], v[220:221] neg_lo:[0,1] neg_hi:[0,1]
	v_pk_add_f32 v[46:47], v[46:47], v[58:59] neg_lo:[0,1] neg_hi:[0,1]
	v_mov_b32_e32 v58, v232
	v_mov_b32_e32 v59, v119
	v_mov_b32_e32 v88, v90
	v_mov_b32_e32 v89, v93
	v_mov_b32_e32 v119, v233
	v_mov_b32_e32 v93, v91
	v_pk_fma_f32 v[58:59], v[46:47], s[24:25], v[58:59] op_sel_hi:[1,0,1] neg_lo:[1,0,1] neg_hi:[1,0,1]
	v_pk_fma_f32 v[88:89], v[48:49], s[26:27], v[88:89] op_sel_hi:[1,0,1] neg_lo:[1,0,1] neg_hi:[1,0,1]
	v_pk_fma_f32 v[46:47], v[46:47], s[24:25], v[118:119] op_sel_hi:[1,0,1] neg_lo:[0,0,1] neg_hi:[0,0,1]
	v_pk_fma_f32 v[48:49], v[48:49], s[26:27], v[92:93] op_sel_hi:[1,0,1] neg_lo:[0,0,1] neg_hi:[0,0,1]
	v_pk_add_f32 v[58:59], v[58:59], v[26:27]
	v_pk_fma_f32 v[88:89], v[94:95], s[14:15], v[88:89] op_sel_hi:[1,0,1]
	v_pk_add_f32 v[26:27], v[46:47], v[26:27]
	v_pk_fma_f32 v[46:47], v[94:95], s[14:15], v[48:49] op_sel_hi:[1,0,1]
	v_pk_add_f32 v[220:221], v[58:59], v[88:89]
	v_pk_add_f32 v[58:59], v[58:59], v[88:89] neg_lo:[0,1] neg_hi:[0,1]
	v_pk_add_f32 v[48:49], v[26:27], v[46:47] neg_lo:[0,1] neg_hi:[0,1]
	v_pk_add_f32 v[26:27], v[26:27], v[46:47]
	v_mov_b32_e32 v89, v59
	v_mov_b32_e32 v47, v27
	;; [unrolled: 1-line block ×6, first 2 shown]
	ds_write2_b64 v213, v[26:27], v[58:59] offset0:96 offset1:120
	v_mov_b32_e32 v231, v239
	v_mov_b32_e32 v26, v236
	;; [unrolled: 1-line block ×6, first 2 shown]
	ds_write2_b64 v213, v[88:89], v[46:47] offset0:48 offset1:72
	ds_write_b64 v213, v[230:231] offset:1152
	ds_write2_b64 v188, v[114:115], v[26:27] offset1:24
	v_pk_add_f32 v[26:27], v[104:105], v[100:101] neg_lo:[0,1] neg_hi:[0,1]
	v_pk_add_f32 v[46:47], v[96:97], v[102:103] neg_lo:[0,1] neg_hi:[0,1]
	v_mov_b32_e32 v48, v112
	v_mov_b32_e32 v49, v53
	;; [unrolled: 1-line block ×6, first 2 shown]
	v_pk_fma_f32 v[48:49], v[46:47], s[24:25], v[48:49] op_sel_hi:[1,0,1] neg_lo:[1,0,1] neg_hi:[1,0,1]
	v_pk_fma_f32 v[54:55], v[26:27], s[26:27], v[54:55] op_sel_hi:[1,0,1] neg_lo:[1,0,1] neg_hi:[1,0,1]
	;; [unrolled: 1-line block ×4, first 2 shown]
	v_pk_add_f32 v[48:49], v[48:49], v[226:227]
	v_pk_fma_f32 v[54:55], v[222:223], s[14:15], v[54:55] op_sel_hi:[1,0,1]
	v_pk_add_f32 v[46:47], v[46:47], v[226:227]
	v_pk_fma_f32 v[26:27], v[222:223], s[14:15], v[26:27] op_sel_hi:[1,0,1]
	v_pk_add_f32 v[58:59], v[48:49], v[54:55]
	v_pk_add_f32 v[48:49], v[48:49], v[54:55] neg_lo:[0,1] neg_hi:[0,1]
	v_pk_add_f32 v[50:51], v[46:47], v[26:27] neg_lo:[0,1] neg_hi:[0,1]
	v_pk_add_f32 v[26:27], v[46:47], v[26:27]
	v_mov_b32_e32 v55, v49
	v_mov_b32_e32 v47, v27
	;; [unrolled: 1-line block ×6, first 2 shown]
	ds_write2_b64 v188, v[26:27], v[48:49] offset0:96 offset1:120
	v_mov_b32_e32 v111, v237
	v_mov_b32_e32 v26, v56
	;; [unrolled: 1-line block ×6, first 2 shown]
	ds_write2_b64 v188, v[54:55], v[46:47] offset0:48 offset1:72
	ds_write_b64 v188, v[110:111] offset:1152
	ds_write2_b64 v178, v[86:87], v[26:27] offset1:24
	v_pk_add_f32 v[26:27], v[68:69], v[64:65] neg_lo:[0,1] neg_hi:[0,1]
	v_pk_add_f32 v[24:25], v[60:61], v[66:67] neg_lo:[0,1] neg_hi:[0,1]
	v_mov_b32_e32 v44, v84
	v_mov_b32_e32 v45, v83
	;; [unrolled: 1-line block ×6, first 2 shown]
	v_pk_fma_f32 v[44:45], v[24:25], s[24:25], v[44:45] op_sel_hi:[1,0,1] neg_lo:[1,0,1] neg_hi:[1,0,1]
	v_pk_fma_f32 v[46:47], v[26:27], s[26:27], v[46:47] op_sel_hi:[1,0,1] neg_lo:[1,0,1] neg_hi:[1,0,1]
	;; [unrolled: 1-line block ×4, first 2 shown]
	v_pk_add_f32 v[44:45], v[44:45], v[80:81]
	v_pk_fma_f32 v[46:47], v[70:71], s[14:15], v[46:47] op_sel_hi:[1,0,1]
	v_pk_add_f32 v[24:25], v[24:25], v[80:81]
	v_pk_fma_f32 v[26:27], v[70:71], s[14:15], v[26:27] op_sel_hi:[1,0,1]
	v_pk_add_f32 v[48:49], v[44:45], v[46:47]
	v_pk_add_f32 v[44:45], v[44:45], v[46:47] neg_lo:[0,1] neg_hi:[0,1]
	v_pk_add_f32 v[50:51], v[24:25], v[26:27] neg_lo:[0,1] neg_hi:[0,1]
	v_pk_add_f32 v[24:25], v[24:25], v[26:27]
	v_mov_b32_e32 v47, v45
	v_mov_b32_e32 v27, v25
	;; [unrolled: 1-line block ×4, first 2 shown]
	ds_write2_b64 v178, v[24:25], v[44:45] offset0:96 offset1:120
	v_mad_u64_u32 v[24:25], s[0:1], v136, 48, s[0:1]
	s_mov_b64 s[0:1], 0x1a30
	v_mov_b32_e32 v46, v48
	v_mov_b32_e32 v26, v50
	;; [unrolled: 1-line block ×3, first 2 shown]
	v_lshl_add_u64 v[72:73], v[24:25], 0, s[0:1]
	s_movk_i32 s0, 0x1000
	ds_write2_b64 v178, v[46:47], v[26:27] offset0:48 offset1:72
	ds_write_b64 v178, v[78:79] offset:1152
	s_waitcnt lgkmcnt(0)
	; wave barrier
	s_waitcnt lgkmcnt(0)
	global_load_dwordx4 v[60:63], v[24:25], off offset:1344
	global_load_dwordx4 v[56:59], v[24:25], off offset:1328
	;; [unrolled: 1-line block ×7, first 2 shown]
	v_add_co_u32_e32 v24, vcc, s0, v24
	s_mov_b32 s0, s9
	s_nop 0
	v_addc_co_u32_e32 v25, vcc, 0, v25, vcc
	global_load_dwordx4 v[24:27], v[24:25], off offset:2608
	s_nop 0
	global_load_dwordx4 v[72:75], v[72:73], off offset:32
	ds_read2_b64 v[90:93], v214 offset0:80 offset1:136
	ds_read2_b64 v[94:97], v214 offset0:192 offset1:248
	;; [unrolled: 1-line block ×8, first 2 shown]
	s_waitcnt lgkmcnt(4)
	v_mov_b32_e32 v232, v105
	v_mov_b32_e32 v233, v96
	;; [unrolled: 1-line block ×4, first 2 shown]
	s_waitcnt vmcnt(8)
	v_mul_f32_e32 v115, v96, v61
	s_waitcnt vmcnt(7)
	v_mul_f32_e32 v76, v91, v59
	v_fma_f32 v106, v90, v58, -v76
	s_waitcnt vmcnt(6)
	v_mul_f32_e32 v76, v105, v53
	v_fma_f32 v114, v104, v52, -v76
	s_waitcnt vmcnt(5)
	v_mul_f32_e32 v76, v93, v51
	v_fma_f32 v118, v92, v50, -v76
	s_waitcnt vmcnt(2)
	v_mov_b32_e32 v76, v71
	v_pk_mul_f32 v[80:81], v[102:103], v[76:77] op_sel_hi:[1,0]
	s_waitcnt lgkmcnt(0)
	v_pk_mul_f32 v[84:85], v[226:227], v[54:55] op_sel_hi:[1,0]
	v_mov_b32_e32 v76, v55
	s_waitcnt vmcnt(1)
	v_pk_mul_f32 v[82:83], v[224:225], v[24:25] op_sel:[0,1]
	v_pk_fma_f32 v[78:79], v[102:103], v[70:71], v[80:81] op_sel:[0,0,1] op_sel_hi:[1,1,0] neg_lo:[0,0,1] neg_hi:[0,0,1]
	v_pk_fma_f32 v[86:87], v[102:103], v[70:71], v[80:81] op_sel:[0,0,1] op_sel_hi:[1,0,0]
	v_pk_fma_f32 v[80:81], v[224:225], v[24:25], v[82:83] op_sel:[0,0,1] op_sel_hi:[1,1,0] neg_lo:[0,0,1] neg_hi:[0,0,1]
	v_pk_fma_f32 v[82:83], v[224:225], v[24:25], v[82:83] op_sel:[0,0,1] op_sel_hi:[1,0,0]
	v_pk_fma_f32 v[102:103], v[226:227], v[76:77], v[84:85] op_sel:[0,0,1] op_sel_hi:[1,0,0]
	v_pk_fma_f32 v[224:225], v[226:227], v[76:77], v[84:85] op_sel:[0,0,1] op_sel_hi:[1,0,0] neg_lo:[1,0,0] neg_hi:[1,0,0]
	v_pk_mul_f32 v[84:85], v[228:229], v[46:47] op_sel_hi:[1,0]
	v_mov_b32_e32 v76, v47
	v_pk_fma_f32 v[226:227], v[228:229], v[76:77], v[84:85] op_sel:[0,0,1] op_sel_hi:[1,0,0]
	v_pk_fma_f32 v[228:229], v[228:229], v[76:77], v[84:85] op_sel:[0,0,1] op_sel_hi:[1,0,0] neg_lo:[1,0,0] neg_hi:[1,0,0]
	v_mov_b32_e32 v76, v27
	v_pk_mul_f32 v[88:89], v[94:95], v[76:77] op_sel_hi:[1,0]
	v_mov_b32_e32 v105, v97
	v_pk_fma_f32 v[84:85], v[94:95], v[26:27], v[88:89] op_sel:[0,0,1] op_sel_hi:[1,1,0] neg_lo:[0,0,1] neg_hi:[0,0,1]
	v_pk_fma_f32 v[88:89], v[94:95], v[26:27], v[88:89] op_sel:[0,0,1] op_sel_hi:[1,0,0]
	v_mov_b32_e32 v94, v53
	v_mov_b32_e32 v95, v61
	v_pk_mul_f32 v[104:105], v[104:105], v[94:95]
	v_pk_mul_f32 v[94:95], v[222:223], v[48:49] op_sel_hi:[1,0]
	v_mov_b32_e32 v96, v91
	v_pk_fma_f32 v[234:235], v[222:223], v[48:49], v[94:95] op_sel:[0,1,1] op_sel_hi:[1,1,0]
	v_pk_fma_f32 v[222:223], v[222:223], v[48:49], v[94:95] op_sel:[0,1,1] op_sel_hi:[1,1,0] neg_lo:[1,0,0] neg_hi:[1,0,0]
	v_mov_b32_e32 v91, v99
	v_mov_b32_e32 v94, v59
	;; [unrolled: 1-line block ×3, first 2 shown]
	v_pk_mul_f32 v[230:231], v[112:113], v[68:69] op_sel:[0,1]
	v_mov_b32_e32 v93, v101
	v_pk_mul_f32 v[238:239], v[90:91], v[94:95]
	v_mov_b32_e32 v90, v51
	v_mov_b32_e32 v91, v67
	v_pk_mul_f32 v[240:241], v[92:93], v[90:91]
	v_pk_fma_f32 v[90:91], v[112:113], v[68:69], v[230:231] op_sel:[0,0,1] op_sel_hi:[1,1,0] neg_lo:[0,0,1] neg_hi:[0,0,1]
	v_pk_fma_f32 v[94:95], v[112:113], v[68:69], v[230:231] op_sel:[0,0,1] op_sel_hi:[1,0,0]
	s_waitcnt vmcnt(0)
	v_pk_mul_f32 v[230:231], v[220:221], v[72:73] op_sel:[0,1]
	v_mul_f32_e32 v172, v219, v45
	v_mov_b32_e32 v112, v219
	v_mov_b32_e32 v219, v111
	v_pk_fma_f32 v[92:93], v[220:221], v[72:73], v[230:231] op_sel:[0,0,1] op_sel_hi:[1,1,0] neg_lo:[0,0,1] neg_hi:[0,0,1]
	v_pk_fma_f32 v[220:221], v[220:221], v[72:73], v[230:231] op_sel:[0,0,1] op_sel_hi:[1,0,0]
	v_mov_b32_e32 v230, v45
	v_mov_b32_e32 v231, v65
	v_mul_f32_e32 v107, v97, v60
	v_mul_f32_e32 v119, v111, v64
	v_mov_b32_e32 v113, v110
	v_mul_f32_e32 v111, v110, v65
	v_fma_f32 v110, v218, v44, -v172
	v_pk_mul_f32 v[218:219], v[218:219], v[230:231]
	v_mov_b32_e32 v97, v98
	v_mul_f32_e32 v231, v99, v62
	v_mul_f32_e32 v243, v98, v63
	v_mov_b32_e32 v98, v58
	v_mov_b32_e32 v99, v62
	v_mul_f32_e32 v245, v101, v66
	v_mul_f32_e32 v247, v100, v67
	v_pk_fma_f32 v[100:101], v[96:97], v[98:99], v[238:239] neg_lo:[0,0,1] neg_hi:[0,0,1]
	v_pk_fma_f32 v[238:239], v[96:97], v[58:59], v[238:239]
	ds_read2_b64 v[96:99], v120 offset0:112 offset1:168
	v_mov_b32_e32 v248, v52
	v_mov_b32_e32 v249, v60
	v_pk_fma_f32 v[248:249], v[232:233], v[248:249], v[104:105] neg_lo:[0,0,1] neg_hi:[0,0,1]
	v_pk_fma_f32 v[104:105], v[232:233], v[52:53], v[104:105]
	s_waitcnt lgkmcnt(0)
	v_pk_mul_f32 v[232:233], v[98:99], v[56:57] op_sel_hi:[1,0]
	v_mov_b32_e32 v242, v225
	v_pk_fma_f32 v[250:251], v[98:99], v[56:57], v[232:233] op_sel:[0,1,1] op_sel_hi:[1,1,0]
	v_pk_fma_f32 v[98:99], v[98:99], v[56:57], v[232:233] op_sel:[0,1,1] op_sel_hi:[1,1,0] neg_lo:[1,0,0] neg_hi:[1,0,0]
	v_mov_b32_e32 v103, v225
	v_mov_b32_e32 v230, v99
	;; [unrolled: 1-line block ×5, first 2 shown]
	v_pk_add_f32 v[224:225], v[230:231], v[242:243]
	v_pk_add_f32 v[230:231], v[106:107], v[114:115]
	;; [unrolled: 1-line block ×3, first 2 shown]
	v_pk_add_f32 v[102:103], v[250:251], v[102:103] neg_lo:[0,1] neg_hi:[0,1]
	v_pk_add_f32 v[250:251], v[238:239], v[104:105]
	v_mov_b32_e32 v99, v106
	v_mov_b32_e32 v98, v225
	;; [unrolled: 1-line block ×4, first 2 shown]
	v_pk_add_f32 v[104:105], v[238:239], v[104:105] neg_lo:[0,1] neg_hi:[0,1]
	v_pk_add_f32 v[106:107], v[98:99], v[106:107] neg_lo:[0,1] neg_hi:[0,1]
	v_mov_b32_e32 v98, v249
	v_mov_b32_e32 v99, v250
	;; [unrolled: 1-line block ×4, first 2 shown]
	v_pk_add_f32 v[114:115], v[98:99], v[100:101]
	v_mov_b32_e32 v98, v102
	v_mov_b32_e32 v99, v105
	v_pk_add_f32 v[238:239], v[98:99], v[106:107] neg_lo:[0,1] neg_hi:[0,1]
	v_mov_b32_e32 v98, v106
	v_mov_b32_e32 v99, v103
	v_pk_add_f32 v[98:99], v[98:99], v[104:105] neg_lo:[0,1] neg_hi:[0,1]
	v_pk_add_f32 v[100:101], v[230:231], v[224:225]
	v_pk_mul_f32 v[242:243], v[98:99], s[22:23]
	v_pk_add_f32 v[98:99], v[104:105], v[106:107]
	v_mov_b32_e32 v231, v101
	v_pk_add_f32 v[248:249], v[98:99], v[102:103]
	v_mov_b32_e32 v98, v114
	v_mov_b32_e32 v99, v232
	v_pk_add_f32 v[252:253], v[98:99], v[230:231] neg_lo:[0,1] neg_hi:[0,1]
	v_mov_b32_e32 v225, v101
	v_pk_add_f32 v[254:255], v[100:101], v[114:115]
	ds_read2_b64 v[98:101], v120 offset1:56
	v_mov_b32_e32 v115, v250
	v_pk_add_f32 v[114:115], v[224:225], v[114:115] neg_lo:[0,1] neg_hi:[0,1]
	v_pk_mul_f32 v[252:253], v[252:253], s[16:17]
	v_pk_fma_f32 v[174:175], v[238:239], s[8:9], v[242:243]
	s_waitcnt lgkmcnt(0)
	v_pk_add_f32 v[98:99], v[98:99], v[254:255]
	v_pk_fma_f32 v[172:173], v[114:115], s[18:19], v[252:253]
	v_pk_fma_f32 v[254:255], v[254:255], s[20:21], v[98:99] op_sel_hi:[1,0,1] neg_lo:[1,0,0] neg_hi:[1,0,0]
	v_mov_b32_e32 v244, v223
	v_mov_b32_e32 v246, v229
	v_pk_add_f32 v[172:173], v[172:173], v[254:255]
	v_pk_fma_f32 v[174:175], v[248:249], s[14:15], v[174:175] op_sel_hi:[1,0,1]
	v_mov_b32_e32 v235, v223
	v_mov_b32_e32 v227, v229
	v_pk_add_f32 v[222:223], v[244:245], v[246:247]
	v_pk_add_f32 v[228:229], v[118:119], v[110:111]
	;; [unrolled: 1-line block ×3, first 2 shown]
	v_pk_add_f32 v[172:173], v[172:173], v[174:175] neg_lo:[0,1] neg_hi:[0,1]
	v_mov_b32_e32 v119, v118
	v_mov_b32_e32 v118, v223
	;; [unrolled: 1-line block ×4, first 2 shown]
	v_pk_add_f32 v[110:111], v[118:119], v[110:111] neg_lo:[0,1] neg_hi:[0,1]
	v_mov_b32_e32 v118, v176
	v_mov_b32_e32 v119, v173
	;; [unrolled: 1-line block ×5, first 2 shown]
	v_pk_mul_f32 v[106:107], v[238:239], s[8:9]
	v_pk_mul_f32 v[114:115], v[114:115], s[18:19]
	v_mov_b32_e32 v174, v50
	v_mov_b32_e32 v175, v66
	ds_write_b64 v120, v[118:119] offset:1344
	v_pk_add_f32 v[102:103], v[104:105], v[102:103] neg_lo:[0,1] neg_hi:[0,1]
	v_pk_add_f32 v[104:105], v[230:231], v[224:225] neg_lo:[0,1] neg_hi:[0,1]
	v_mov_b32_e32 v118, v114
	v_mov_b32_e32 v119, v253
	;; [unrolled: 1-line block ×4, first 2 shown]
	v_pk_fma_f32 v[174:175], v[236:237], v[174:175], v[240:241] neg_lo:[0,0,1] neg_hi:[0,0,1]
	v_pk_fma_f32 v[236:237], v[236:237], v[50:51], v[240:241]
	v_mov_b32_e32 v240, v44
	v_mov_b32_e32 v241, v64
	v_pk_fma_f32 v[118:119], v[104:105], s[24:25], v[118:119] op_sel_hi:[1,0,1] neg_lo:[1,0,1] neg_hi:[1,0,1]
	v_pk_fma_f32 v[224:225], v[102:103], s[26:27], v[224:225] op_sel_hi:[1,0,1] neg_lo:[1,0,1] neg_hi:[1,0,1]
	v_pk_fma_f32 v[240:241], v[112:113], v[240:241], v[218:219] neg_lo:[0,0,1] neg_hi:[0,0,1]
	v_pk_fma_f32 v[112:113], v[112:113], v[44:45], v[218:219]
	v_pk_add_f32 v[118:119], v[118:119], v[254:255]
	v_pk_fma_f32 v[224:225], v[248:249], s[14:15], v[224:225] op_sel_hi:[1,0,1]
	v_mov_b32_e32 v237, v175
	v_mov_b32_e32 v113, v241
	v_pk_add_f32 v[230:231], v[118:119], v[224:225]
	v_pk_add_f32 v[118:119], v[118:119], v[224:225] neg_lo:[0,1] neg_hi:[0,1]
	v_mov_b32_e32 v79, v87
	ds_read_b64 v[86:87], v120 offset:8960
	v_pk_add_f32 v[218:219], v[234:235], v[226:227]
	v_pk_add_f32 v[226:227], v[234:235], v[226:227] neg_lo:[0,1] neg_hi:[0,1]
	v_pk_add_f32 v[234:235], v[236:237], v[112:113]
	v_mov_b32_e32 v224, v230
	v_mov_b32_e32 v225, v119
	ds_write_b64 v120, v[224:225] offset:2688
	v_mov_b32_e32 v224, v241
	v_mov_b32_e32 v225, v234
	;; [unrolled: 1-line block ×4, first 2 shown]
	v_pk_add_f32 v[174:175], v[224:225], v[174:175]
	v_pk_add_f32 v[224:225], v[228:229], v[222:223]
	v_pk_add_f32 v[112:113], v[236:237], v[112:113] neg_lo:[0,1] neg_hi:[0,1]
	v_mov_b32_e32 v229, v225
	v_mov_b32_e32 v236, v110
	;; [unrolled: 1-line block ×7, first 2 shown]
	v_pk_add_f32 v[224:225], v[224:225], v[174:175]
	v_mov_b32_e32 v232, v226
	v_mov_b32_e32 v233, v113
	v_pk_add_f32 v[236:237], v[236:237], v[112:113] neg_lo:[0,1] neg_hi:[0,1]
	v_pk_add_f32 v[240:241], v[240:241], v[228:229] neg_lo:[0,1] neg_hi:[0,1]
	v_mov_b32_e32 v175, v234
	v_mov_b32_e32 v253, v115
	;; [unrolled: 1-line block ×4, first 2 shown]
	s_waitcnt lgkmcnt(1)
	v_pk_mul_f32 v[82:83], v[86:87], v[76:77] op_sel_hi:[1,0]
	v_pk_add_f32 v[100:101], v[100:101], v[224:225]
	v_pk_add_f32 v[232:233], v[232:233], v[110:111] neg_lo:[0,1] neg_hi:[0,1]
	v_pk_mul_f32 v[236:237], v[236:237], s[22:23]
	v_pk_add_f32 v[238:239], v[112:113], v[110:111]
	v_pk_add_f32 v[174:175], v[222:223], v[174:175] neg_lo:[0,1] neg_hi:[0,1]
	v_pk_mul_f32 v[240:241], v[240:241], s[16:17]
	v_pk_fma_f32 v[104:105], v[104:105], s[24:25], v[252:253] op_sel_hi:[1,0,1] neg_lo:[0,0,1] neg_hi:[0,0,1]
	v_pk_fma_f32 v[102:103], v[102:103], s[26:27], v[242:243] op_sel_hi:[1,0,1] neg_lo:[0,0,1] neg_hi:[0,0,1]
	v_mov_b32_e32 v85, v89
	v_pk_fma_f32 v[88:89], v[86:87], v[74:75], v[82:83] op_sel:[0,0,1] op_sel_hi:[1,1,0] neg_lo:[0,0,1] neg_hi:[0,0,1]
	v_pk_fma_f32 v[82:83], v[86:87], v[74:75], v[82:83] op_sel:[0,0,1] op_sel_hi:[1,0,0]
	v_pk_add_f32 v[238:239], v[238:239], v[226:227]
	v_pk_fma_f32 v[224:225], v[224:225], s[20:21], v[100:101] op_sel_hi:[1,0,1] neg_lo:[1,0,0] neg_hi:[1,0,0]
	v_pk_fma_f32 v[244:245], v[174:175], s[18:19], v[240:241]
	v_pk_fma_f32 v[246:247], v[232:233], s[8:9], v[236:237]
	v_pk_add_f32 v[104:105], v[104:105], v[254:255]
	v_pk_fma_f32 v[102:103], v[248:249], s[14:15], v[102:103] op_sel_hi:[1,0,1]
	v_mov_b32_e32 v93, v221
	v_mov_b32_e32 v89, v83
	v_pk_add_f32 v[244:245], v[244:245], v[224:225]
	v_pk_fma_f32 v[246:247], v[238:239], s[14:15], v[246:247] op_sel_hi:[1,0,1]
	v_pk_add_f32 v[106:107], v[104:105], v[102:103] neg_lo:[0,1] neg_hi:[0,1]
	v_pk_add_f32 v[102:103], v[104:105], v[102:103]
	v_mov_b32_e32 v91, v95
	v_pk_add_f32 v[82:83], v[80:81], v[88:89]
	v_pk_add_f32 v[86:87], v[84:85], v[92:93]
	;; [unrolled: 1-line block ×3, first 2 shown]
	v_pk_add_f32 v[244:245], v[244:245], v[246:247] neg_lo:[0,1] neg_hi:[0,1]
	v_mov_b32_e32 v104, v106
	v_mov_b32_e32 v105, v103
	v_pk_add_f32 v[80:81], v[80:81], v[88:89] neg_lo:[0,1] neg_hi:[0,1]
	v_pk_add_f32 v[88:89], v[90:91], v[78:79]
	v_pk_add_f32 v[78:79], v[78:79], v[90:91] neg_lo:[0,1] neg_hi:[0,1]
	v_pk_add_f32 v[90:91], v[86:87], v[82:83]
	ds_write_b64 v120, v[104:105] offset:4032
	v_mov_b32_e32 v173, v177
	v_mov_b32_e32 v104, v244
	;; [unrolled: 1-line block ×3, first 2 shown]
	v_pk_add_f32 v[84:85], v[84:85], v[92:93] neg_lo:[0,1] neg_hi:[0,1]
	v_mov_b32_e32 v92, v90
	v_mov_b32_e32 v93, v89
	;; [unrolled: 1-line block ×3, first 2 shown]
	ds_write2_b64 v109, v[172:173], v[104:105] offset0:112 offset1:168
	v_pk_add_f32 v[90:91], v[92:93], v[90:91]
	v_pk_add_f32 v[104:105], v[78:79], v[84:85] op_sel:[1,1] op_sel_hi:[0,0] neg_lo:[0,1] neg_hi:[0,1]
	v_pk_add_f32 v[92:93], v[96:97], v[90:91]
	v_pk_add_f32 v[96:97], v[78:79], v[84:85] op_sel:[1,1] op_sel_hi:[0,0]
	v_pk_add_f32 v[84:85], v[84:85], v[80:81] op_sel:[1,1] op_sel_hi:[0,0] neg_lo:[0,1] neg_hi:[0,1]
	v_pk_mul_f32 v[104:105], v[104:105], s[0:1] op_sel_hi:[1,0]
	v_mov_b32_e32 v103, v107
	v_lshlrev_b32_e32 v76, 3, v136
	v_pk_fma_f32 v[172:173], v[84:85], s[26:27], v[104:105] op_sel_hi:[1,0,1] neg_lo:[0,0,1] neg_hi:[0,0,1]
	ds_write_b64 v120, v[102:103] offset:5376
	v_mov_b32_e32 v119, v231
	v_lshl_add_u64 v[102:103], s[12:13], 0, v[76:77]
	v_pk_mul_f32 v[76:77], v[84:85], s[26:27] op_sel_hi:[1,0]
	v_pk_mul_f32 v[84:85], v[232:233], s[8:9]
	v_pk_mul_f32 v[106:107], v[174:175], s[18:19]
	v_mov_b32_e32 v113, v111
	v_mov_b32_e32 v229, v234
	;; [unrolled: 1-line block ×3, first 2 shown]
	v_pk_add_f32 v[94:95], v[86:87], v[82:83] neg_lo:[0,1] neg_hi:[0,1]
	v_pk_add_f32 v[86:87], v[88:89], v[86:87] neg_lo:[0,1] neg_hi:[0,1]
	ds_write_b64 v120, v[118:119] offset:6720
	ds_write2_b64 v120, v[98:99], v[100:101] offset1:56
	v_pk_add_f32 v[98:99], v[112:113], v[226:227] neg_lo:[0,1] neg_hi:[0,1]
	v_pk_add_f32 v[100:101], v[228:229], v[222:223] neg_lo:[0,1] neg_hi:[0,1]
	v_mov_b32_e32 v110, v106
	v_mov_b32_e32 v111, v241
	;; [unrolled: 1-line block ×5, first 2 shown]
	v_pk_mul_f32 v[114:115], v[86:87], s[16:17] op_sel_hi:[1,0]
	v_pk_fma_f32 v[110:111], v[100:101], s[24:25], v[110:111] op_sel_hi:[1,0,1] neg_lo:[1,0,1] neg_hi:[1,0,1]
	v_mov_b32_e32 v112, v84
	v_pk_fma_f32 v[100:101], v[100:101], s[24:25], v[240:241] op_sel_hi:[1,0,1] neg_lo:[0,0,1] neg_hi:[0,0,1]
	v_pk_fma_f32 v[84:85], v[98:99], s[26:27], v[236:237] op_sel_hi:[1,0,1] neg_lo:[0,0,1] neg_hi:[0,0,1]
	v_pk_add_f32 v[96:97], v[96:97], v[80:81] op_sel:[0,1] op_sel_hi:[1,0]
	v_pk_fma_f32 v[90:91], v[90:91], s[20:21], v[92:93] op_sel_hi:[1,0,1] neg_lo:[1,0,0] neg_hi:[1,0,0]
	v_pk_fma_f32 v[114:115], v[94:95], s[24:25], v[114:115] op_sel_hi:[1,0,1] neg_lo:[0,0,1] neg_hi:[0,0,1]
	;; [unrolled: 1-line block ×3, first 2 shown]
	v_pk_add_f32 v[98:99], v[100:101], v[224:225]
	v_pk_fma_f32 v[84:85], v[238:239], s[14:15], v[84:85] op_sel_hi:[1,0,1]
	v_pk_add_f32 v[114:115], v[114:115], v[90:91]
	v_pk_fma_f32 v[172:173], v[96:97], s[14:15], v[172:173] op_sel_hi:[1,0,1]
	;; [unrolled: 2-line block ×3, first 2 shown]
	v_pk_add_f32 v[100:101], v[98:99], v[84:85] neg_lo:[0,1] neg_hi:[0,1]
	v_pk_add_f32 v[84:85], v[98:99], v[84:85]
	v_pk_add_f32 v[82:83], v[82:83], v[88:89] neg_lo:[0,1] neg_hi:[0,1]
	s_mov_b32 s0, s17
	v_pk_add_f32 v[176:177], v[114:115], v[172:173] neg_lo:[0,1] neg_hi:[0,1]
	v_pk_add_f32 v[114:115], v[114:115], v[172:173]
	v_pk_add_f32 v[118:119], v[110:111], v[112:113]
	v_pk_add_f32 v[110:111], v[110:111], v[112:113] neg_lo:[0,1] neg_hi:[0,1]
	v_mov_b32_e32 v99, v85
	v_mov_b32_e32 v85, v101
	v_pk_add_f32 v[78:79], v[80:81], v[78:79] op_sel:[1,1] op_sel_hi:[0,0] neg_lo:[0,1] neg_hi:[0,1]
	v_pk_mul_f32 v[80:81], v[82:83], s[0:1] op_sel_hi:[1,0]
	v_mov_b32_e32 v112, v118
	v_mov_b32_e32 v113, v111
	;; [unrolled: 1-line block ×3, first 2 shown]
	ds_write_b64 v120, v[84:85] offset:5824
	v_mov_b32_e32 v111, v119
	v_mov_b32_e32 v84, v176
	;; [unrolled: 1-line block ×3, first 2 shown]
	v_pk_fma_f32 v[82:83], v[86:87], s[16:17], v[80:81] op_sel_hi:[1,0,1]
	v_pk_fma_f32 v[80:81], v[94:95], s[24:25], v[80:81] op_sel_hi:[1,0,1] neg_lo:[1,0,1] neg_hi:[1,0,1]
	v_pk_fma_f32 v[76:77], v[78:79], s[8:9], v[76:77] op_sel_hi:[1,0,1] neg_lo:[1,0,1] neg_hi:[1,0,1]
	ds_write_b64 v120, v[112:113] offset:3136
	ds_write_b64 v120, v[110:111] offset:7168
	;; [unrolled: 1-line block ×3, first 2 shown]
	ds_write2_b64 v108, v[98:99], v[84:85] offset0:48 offset1:104
	v_pk_fma_f32 v[84:85], v[78:79], s[8:9], v[104:105] op_sel_hi:[1,0,1]
	v_pk_add_f32 v[78:79], v[80:81], v[90:91]
	v_pk_fma_f32 v[76:77], v[96:97], s[14:15], v[76:77] op_sel_hi:[1,0,1]
	v_mov_b32_e32 v251, v245
	v_pk_add_f32 v[80:81], v[78:79], v[76:77] neg_lo:[0,1] neg_hi:[0,1]
	v_pk_add_f32 v[76:77], v[78:79], v[76:77]
	v_pk_add_f32 v[78:79], v[82:83], v[90:91]
	v_pk_fma_f32 v[82:83], v[96:97], s[14:15], v[84:85] op_sel_hi:[1,0,1]
	v_mov_b32_e32 v115, v177
	v_pk_add_f32 v[84:85], v[78:79], v[82:83] neg_lo:[0,1] neg_hi:[0,1]
	v_pk_add_f32 v[78:79], v[78:79], v[82:83]
	s_movk_i32 s0, 0x2000
	v_mov_b32_e32 v119, v79
	v_mov_b32_e32 v79, v85
	ds_write_b64 v120, v[114:115] offset:6272
	ds_write2_b64 v215, v[250:251], v[78:79] offset0:96 offset1:152
	v_mov_b32_e32 v78, v76
	v_add_co_u32_e32 v76, vcc, s0, v102
	v_mov_b32_e32 v79, v81
	v_mov_b32_e32 v81, v77
	v_addc_co_u32_e32 v77, vcc, 0, v103, vcc
	v_mov_b32_e32 v118, v84
	ds_write_b64 v120, v[78:79] offset:3584
	ds_write_b64 v120, v[80:81] offset:7616
	;; [unrolled: 1-line block ×3, first 2 shown]
	s_waitcnt lgkmcnt(0)
	; wave barrier
	s_waitcnt lgkmcnt(0)
	global_load_dwordx2 v[82:83], v[76:77], off offset:1216
	s_movk_i32 s0, 0x3000
	v_add_co_u32_e32 v78, vcc, s0, v102
	s_mov_b64 s[0:1], 0x24c0
	s_nop 0
	v_addc_co_u32_e32 v79, vcc, 0, v103, vcc
	global_load_dwordx2 v[86:87], v[78:79], off offset:1824
	v_lshl_add_u64 v[76:77], v[102:103], 0, s[0:1]
	global_load_dwordx2 v[88:89], v[76:77], off offset:448
	global_load_dwordx2 v[90:91], v[78:79], off offset:2272
	;; [unrolled: 1-line block ×11, first 2 shown]
	ds_read2_b64 v[78:81], v120 offset1:56
	s_movk_i32 s0, 0x4000
	v_add_co_u32_e32 v102, vcc, s0, v102
	s_waitcnt vmcnt(12) lgkmcnt(0)
	v_mul_f32_e32 v84, v79, v83
	v_addc_co_u32_e32 v103, vcc, 0, v103, vcc
	v_mul_f32_e32 v85, v78, v83
	global_load_dwordx2 v[114:115], v[102:103], off offset:416
	v_fma_f32 v84, v78, v82, -v84
	v_fmac_f32_e32 v85, v79, v82
	global_load_dwordx2 v[172:173], v[76:77], off offset:3136
	global_load_dwordx2 v[174:175], v[76:77], off offset:4032
	ds_write_b64 v120, v[84:85]
	ds_read2_b64 v[82:85], v108 offset0:76 offset1:132
	global_load_dwordx2 v[176:177], v[102:103], off offset:864
	global_load_dwordx2 v[222:223], v[102:103], off offset:1312
	s_waitcnt vmcnt(16) lgkmcnt(0)
	v_mul_f32_e32 v78, v83, v87
	v_fma_f32 v220, v82, v86, -v78
	v_mul_f32_e32 v221, v82, v87
	s_waitcnt vmcnt(15)
	v_mul_f32_e32 v78, v81, v89
	v_mul_f32_e32 v87, v80, v89
	s_waitcnt vmcnt(14)
	v_mul_f32_e32 v82, v85, v91
	v_mul_f32_e32 v89, v84, v91
	v_fmac_f32_e32 v221, v83, v86
	v_fma_f32 v86, v80, v88, -v78
	v_fmac_f32_e32 v87, v81, v88
	v_fma_f32 v88, v84, v90, -v82
	v_fmac_f32_e32 v89, v85, v90
	global_load_dwordx2 v[90:91], v[102:103], off offset:1760
	global_load_dwordx2 v[218:219], v[76:77], off offset:3584
	ds_read2_b64 v[78:81], v120 offset0:112 offset1:168
	ds_read2_b64 v[82:85], v108 offset0:188 offset1:244
	s_waitcnt vmcnt(15) lgkmcnt(1)
	v_mul_f32_e32 v102, v79, v93
	v_mul_f32_e32 v103, v78, v93
	v_fma_f32 v102, v78, v92, -v102
	v_fmac_f32_e32 v103, v79, v92
	s_waitcnt vmcnt(14) lgkmcnt(0)
	v_mul_f32_e32 v78, v83, v95
	v_mul_f32_e32 v79, v82, v95
	v_fma_f32 v78, v82, v94, -v78
	v_fmac_f32_e32 v79, v83, v94
	ds_write2_b64 v120, v[86:87], v[102:103] offset0:56 offset1:112
	ds_write2_b64 v108, v[88:89], v[78:79] offset0:132 offset1:188
	s_waitcnt vmcnt(13)
	v_mul_f32_e32 v78, v81, v97
	v_mul_f32_e32 v87, v80, v97
	v_fma_f32 v86, v80, v96, -v78
	v_fmac_f32_e32 v87, v81, v96
	ds_read2_b64 v[78:81], v215 offset0:96 offset1:152
	s_waitcnt vmcnt(12)
	v_mul_f32_e32 v82, v85, v99
	v_mul_f32_e32 v89, v84, v99
	v_fma_f32 v88, v84, v98, -v82
	v_fmac_f32_e32 v89, v85, v98
	ds_read2_b64 v[82:85], v216 offset0:44 offset1:100
	s_waitcnt vmcnt(11) lgkmcnt(1)
	v_mul_f32_e32 v92, v79, v101
	v_mul_f32_e32 v93, v78, v101
	v_fma_f32 v92, v78, v100, -v92
	v_fmac_f32_e32 v93, v79, v100
	s_waitcnt vmcnt(10) lgkmcnt(0)
	v_mul_f32_e32 v78, v83, v105
	v_mul_f32_e32 v79, v82, v105
	v_fma_f32 v78, v82, v104, -v78
	v_fmac_f32_e32 v79, v83, v104
	v_add_u32_e32 v82, 0x1400, v120
	ds_write2_b64 v120, v[86:87], v[92:93] offset0:168 offset1:224
	ds_write2_b64 v82, v[88:89], v[78:79] offset0:116 offset1:172
	s_waitcnt vmcnt(9)
	v_mul_f32_e32 v78, v81, v107
	v_mul_f32_e32 v87, v80, v107
	v_fma_f32 v86, v80, v106, -v78
	v_fmac_f32_e32 v87, v81, v106
	ds_read2_b64 v[78:81], v214 offset0:80 offset1:136
	s_waitcnt vmcnt(8)
	v_mul_f32_e32 v82, v85, v111
	v_mul_f32_e32 v89, v84, v111
	v_fma_f32 v88, v84, v110, -v82
	v_fmac_f32_e32 v89, v85, v110
	ds_read2_b64 v[82:85], v216 offset0:156 offset1:212
	s_waitcnt vmcnt(7) lgkmcnt(1)
	v_mul_f32_e32 v92, v79, v113
	v_mul_f32_e32 v93, v78, v113
	v_fma_f32 v92, v78, v112, -v92
	v_fmac_f32_e32 v93, v79, v112
	ds_write2_b64 v214, v[86:87], v[92:93] offset0:24 offset1:80
	s_waitcnt vmcnt(6) lgkmcnt(1)
	v_mul_f32_e32 v78, v83, v115
	v_mul_f32_e32 v79, v82, v115
	v_fma_f32 v78, v82, v114, -v78
	v_fmac_f32_e32 v79, v83, v114
	ds_write2_b64 v216, v[88:89], v[78:79] offset0:100 offset1:156
	s_waitcnt vmcnt(5)
	v_mul_f32_e32 v78, v81, v173
	v_fma_f32 v88, v80, v172, -v78
	v_mul_f32_e32 v89, v80, v173
	s_waitcnt vmcnt(3)
	v_mul_f32_e32 v78, v85, v177
	v_fmac_f32_e32 v89, v81, v172
	ds_read2_b64 v[80:83], v214 offset0:192 offset1:248
	v_fma_f32 v92, v84, v176, -v78
	v_mul_f32_e32 v93, v84, v177
	v_add_u32_e32 v78, 0x2000, v120
	v_fmac_f32_e32 v93, v85, v176
	ds_read2_b64 v[84:87], v78 offset0:12 offset1:68
	s_waitcnt vmcnt(0) lgkmcnt(1)
	v_mul_f32_e32 v79, v81, v219
	v_mul_f32_e32 v95, v80, v219
	v_fma_f32 v94, v80, v218, -v79
	v_fmac_f32_e32 v95, v81, v218
	s_waitcnt lgkmcnt(0)
	v_mul_f32_e32 v79, v85, v223
	v_mul_f32_e32 v81, v84, v223
	v_fma_f32 v80, v84, v222, -v79
	v_fmac_f32_e32 v81, v85, v222
	ds_write2_b64 v109, v[92:93], v[80:81] offset0:84 offset1:140
	v_mul_f32_e32 v79, v83, v175
	v_mul_f32_e32 v81, v82, v175
	v_fma_f32 v80, v82, v174, -v79
	v_fmac_f32_e32 v81, v83, v174
	v_add_u32_e32 v79, 0xc00, v120
	ds_write2_b64 v79, v[80:81], v[220:221] offset0:120 offset1:204
	v_mul_f32_e32 v79, v87, v91
	v_mul_f32_e32 v81, v86, v91
	v_fma_f32 v80, v86, v90, -v79
	v_fmac_f32_e32 v81, v87, v90
	ds_write2_b64 v214, v[88:89], v[94:95] offset0:136 offset1:192
	ds_write_b64 v120, v[80:81] offset:8736
	s_and_saveexec_b64 s[0:1], s[2:3]
	s_cbranch_execz .LBB0_17
; %bb.16:
	v_add_co_u32_e32 v80, vcc, 0x1000, v76
	s_nop 1
	v_addc_co_u32_e32 v81, vcc, 0, v77, vcc
	v_add_co_u32_e32 v76, vcc, 0x2000, v76
	global_load_dwordx2 v[80:81], v[80:81], off offset:384
	s_nop 0
	v_addc_co_u32_e32 v77, vcc, 0, v77, vcc
	global_load_dwordx2 v[76:77], v[76:77], off offset:992
	ds_read_b64 v[82:83], v120 offset:4480
	ds_read_b64 v[84:85], v120 offset:9184
	s_waitcnt vmcnt(1) lgkmcnt(1)
	v_mul_f32_e32 v79, v83, v81
	v_mul_f32_e32 v87, v82, v81
	v_fma_f32 v86, v82, v80, -v79
	s_waitcnt vmcnt(0) lgkmcnt(0)
	v_mul_f32_e32 v79, v85, v77
	v_mul_f32_e32 v81, v84, v77
	v_fmac_f32_e32 v87, v83, v80
	v_fma_f32 v80, v84, v76, -v79
	v_fmac_f32_e32 v81, v85, v76
	ds_write_b64 v120, v[86:87] offset:4480
	ds_write_b64 v120, v[80:81] offset:9184
.LBB0_17:
	s_or_b64 exec, exec, s[0:1]
	s_waitcnt lgkmcnt(0)
	; wave barrier
	s_waitcnt lgkmcnt(0)
	ds_read2_b64 v[96:99], v120 offset1:56
	ds_read2_b64 v[112:115], v108 offset0:76 offset1:132
	ds_read2_b64 v[92:95], v120 offset0:112 offset1:168
	;; [unrolled: 1-line block ×9, first 2 shown]
	v_lshlrev_b32_e32 v214, 3, v193
	v_lshlrev_b32_e32 v193, 3, v199
	s_and_saveexec_b64 s[0:1], s[2:3]
	s_cbranch_execz .LBB0_19
; %bb.18:
	ds_read_b64 v[118:119], v120 offset:4480
	ds_read_b64 v[116:117], v120 offset:9184
.LBB0_19:
	s_or_b64 exec, exec, s[0:1]
	s_waitcnt lgkmcnt(8)
	v_pk_add_f32 v[112:113], v[96:97], v[112:113] neg_lo:[0,1] neg_hi:[0,1]
	v_pk_add_f32 v[114:115], v[98:99], v[114:115] neg_lo:[0,1] neg_hi:[0,1]
	s_waitcnt lgkmcnt(6)
	v_pk_add_f32 v[108:109], v[92:93], v[108:109] neg_lo:[0,1] neg_hi:[0,1]
	v_pk_add_f32 v[218:219], v[94:95], v[110:111] neg_lo:[0,1] neg_hi:[0,1]
	v_pk_fma_f32 v[110:111], v[96:97], 2.0, v[112:113] op_sel_hi:[1,0,1] neg_lo:[0,0,1] neg_hi:[0,0,1]
	v_accvgpr_read_b32 v96, a1
	s_waitcnt lgkmcnt(4)
	v_pk_add_f32 v[220:221], v[90:91], v[106:107] neg_lo:[0,1] neg_hi:[0,1]
	s_waitcnt lgkmcnt(0)
	; wave barrier
	s_waitcnt lgkmcnt(0)
	ds_write_b128 v96, v[110:113]
	v_pk_fma_f32 v[112:113], v[98:99], 2.0, v[114:115] op_sel_hi:[1,0,1] neg_lo:[0,0,1] neg_hi:[0,0,1]
	v_accvgpr_read_b32 v96, a2
	v_pk_fma_f32 v[106:107], v[92:93], 2.0, v[108:109] op_sel_hi:[1,0,1] neg_lo:[0,0,1] neg_hi:[0,0,1]
	v_pk_add_f32 v[104:105], v[88:89], v[104:105] neg_lo:[0,1] neg_hi:[0,1]
	ds_write_b128 v96, v[112:115]
	ds_write_b128 v217, v[106:109]
	v_pk_fma_f32 v[216:217], v[94:95], 2.0, v[218:219] op_sel_hi:[1,0,1] neg_lo:[0,0,1] neg_hi:[0,0,1]
	v_accvgpr_read_b32 v92, a3
	v_pk_add_f32 v[100:101], v[84:85], v[100:101] neg_lo:[0,1] neg_hi:[0,1]
	v_pk_add_f32 v[222:223], v[86:87], v[102:103] neg_lo:[0,1] neg_hi:[0,1]
	ds_write_b128 v92, v[216:219]
	v_pk_fma_f32 v[102:103], v[88:89], 2.0, v[104:105] op_sel_hi:[1,0,1] neg_lo:[0,0,1] neg_hi:[0,0,1]
	v_pk_fma_f32 v[218:219], v[90:91], 2.0, v[220:221] op_sel_hi:[1,0,1] neg_lo:[0,0,1] neg_hi:[0,0,1]
	v_pk_add_f32 v[224:225], v[80:81], v[76:77] neg_lo:[0,1] neg_hi:[0,1]
	ds_write_b128 v143, v[102:105]
	ds_write_b128 v180, v[218:221]
	v_pk_fma_f32 v[98:99], v[84:85], 2.0, v[100:101] op_sel_hi:[1,0,1] neg_lo:[0,0,1] neg_hi:[0,0,1]
	v_pk_fma_f32 v[220:221], v[86:87], 2.0, v[222:223] op_sel_hi:[1,0,1] neg_lo:[0,0,1] neg_hi:[0,0,1]
	v_pk_add_f32 v[226:227], v[82:83], v[78:79] neg_lo:[0,1] neg_hi:[0,1]
	v_pk_add_f32 v[78:79], v[118:119], v[116:117] neg_lo:[0,1] neg_hi:[0,1]
	ds_write_b128 v181, v[98:101]
	ds_write_b128 v214, v[220:223]
	v_pk_fma_f32 v[222:223], v[80:81], 2.0, v[224:225] op_sel_hi:[1,0,1] neg_lo:[0,0,1] neg_hi:[0,0,1]
	v_pk_fma_f32 v[76:77], v[118:119], 2.0, v[78:79] op_sel_hi:[1,0,1] neg_lo:[0,0,1] neg_hi:[0,0,1]
	ds_write_b128 v182, v[222:225]
	v_pk_fma_f32 v[224:225], v[82:83], 2.0, v[226:227] op_sel_hi:[1,0,1] neg_lo:[0,0,1] neg_hi:[0,0,1]
	ds_write_b128 v193, v[224:227]
	s_and_saveexec_b64 s[0:1], s[2:3]
	s_cbranch_execz .LBB0_21
; %bb.20:
	v_accvgpr_read_b32 v80, a4
	ds_write_b128 v80, v[76:79]
.LBB0_21:
	s_or_b64 exec, exec, s[0:1]
	v_add_u32_e32 v80, 0x1000, v120
	s_waitcnt lgkmcnt(0)
	; wave barrier
	s_waitcnt lgkmcnt(0)
	ds_read2_b64 v[112:115], v120 offset1:56
	ds_read2_b64 v[116:119], v80 offset0:76 offset1:132
	ds_read2_b64 v[104:107], v120 offset0:112 offset1:168
	ds_read2_b64 v[108:111], v80 offset0:188 offset1:244
	v_add_u32_e32 v80, 0x400, v120
	ds_read2_b64 v[96:99], v80 offset0:96 offset1:152
	v_add_u32_e32 v80, 0x1800, v120
	v_add_u32_e32 v81, 0x800, v120
	ds_read2_b64 v[100:103], v80 offset0:44 offset1:100
	ds_read2_b64 v[88:91], v81 offset0:80 offset1:136
	;; [unrolled: 1-line block ×4, first 2 shown]
	v_add_u32_e32 v84, 0x2000, v120
	ds_read2_b64 v[84:87], v84 offset0:12 offset1:68
	v_mov_b32_e32 v174, v170
	v_mov_b32_e32 v175, v170
	;; [unrolled: 1-line block ×4, first 2 shown]
	s_and_saveexec_b64 s[0:1], s[2:3]
	s_cbranch_execz .LBB0_23
; %bb.22:
	ds_read_b64 v[76:77], v120 offset:4480
	ds_read_b64 v[78:79], v120 offset:9184
.LBB0_23:
	s_or_b64 exec, exec, s[0:1]
	s_waitcnt lgkmcnt(0)
	v_pk_mul_f32 v[172:173], v[170:171], v[78:79] op_sel:[0,1]
	s_nop 0
	v_pk_fma_f32 v[180:181], v[170:171], v[78:79], v[172:173] op_sel:[0,0,1] op_sel_hi:[1,1,0]
	v_pk_fma_f32 v[78:79], v[170:171], v[78:79], v[172:173] op_sel:[0,0,1] op_sel_hi:[1,0,0] neg_lo:[1,0,0] neg_hi:[1,0,0]
	; wave barrier
	s_nop 0
	v_mov_b32_e32 v181, v79
	v_pk_add_f32 v[172:173], v[76:77], v[180:181] neg_lo:[0,1] neg_hi:[0,1]
	s_nop 0
	v_pk_fma_f32 v[170:171], v[76:77], 2.0, v[172:173] op_sel_hi:[1,0,1] neg_lo:[0,0,1] neg_hi:[0,0,1]
	v_pk_mul_f32 v[76:77], v[176:177], v[116:117]
	s_nop 0
	v_pk_fma_f32 v[78:79], v[174:175], v[116:117], v[76:77] op_sel:[0,0,1] op_sel_hi:[1,1,0]
	v_pk_fma_f32 v[76:77], v[174:175], v[116:117], v[76:77] op_sel:[0,0,1] op_sel_hi:[1,1,0] neg_lo:[0,0,1] neg_hi:[0,0,1]
	s_nop 0
	v_mov_b32_e32 v79, v77
	v_pk_add_f32 v[76:77], v[112:113], v[78:79] neg_lo:[0,1] neg_hi:[0,1]
	s_nop 0
	v_pk_fma_f32 v[78:79], v[112:113], 2.0, v[76:77] op_sel_hi:[1,0,1] neg_lo:[0,0,1] neg_hi:[0,0,1]
	ds_write2_b64 v183, v[78:79], v[76:77] offset1:2
	v_pk_mul_f32 v[76:77], v[176:177], v[118:119]
	s_nop 0
	v_pk_fma_f32 v[78:79], v[174:175], v[118:119], v[76:77] op_sel:[0,0,1] op_sel_hi:[1,1,0]
	v_pk_fma_f32 v[76:77], v[174:175], v[118:119], v[76:77] op_sel:[0,0,1] op_sel_hi:[1,1,0] neg_lo:[0,0,1] neg_hi:[0,0,1]
	s_nop 0
	v_mov_b32_e32 v79, v77
	v_pk_add_f32 v[76:77], v[114:115], v[78:79] neg_lo:[0,1] neg_hi:[0,1]
	s_nop 0
	v_pk_fma_f32 v[78:79], v[114:115], 2.0, v[76:77] op_sel_hi:[1,0,1] neg_lo:[0,0,1] neg_hi:[0,0,1]
	ds_write2_b64 v184, v[78:79], v[76:77] offset1:2
	;; [unrolled: 10-line block ×10, first 2 shown]
	s_and_saveexec_b64 s[0:1], s[2:3]
	s_cbranch_execz .LBB0_25
; %bb.24:
	s_movk_i32 s8, 0x4fc
	v_accvgpr_read_b32 v76, a0
	v_and_or_b32 v76, v76, s8, v137
	v_lshlrev_b32_e32 v76, 3, v76
	ds_write2_b64 v76, v[170:171], v[172:173] offset1:2
.LBB0_25:
	s_or_b64 exec, exec, s[0:1]
	v_add_u32_e32 v76, 0x1000, v120
	s_waitcnt lgkmcnt(0)
	; wave barrier
	s_waitcnt lgkmcnt(0)
	ds_read2_b64 v[108:111], v120 offset1:56
	ds_read2_b64 v[112:115], v76 offset0:76 offset1:132
	ds_read2_b64 v[100:103], v120 offset0:112 offset1:168
	;; [unrolled: 1-line block ×3, first 2 shown]
	v_add_u32_e32 v76, 0x400, v120
	ds_read2_b64 v[92:95], v76 offset0:96 offset1:152
	v_add_u32_e32 v76, 0x1800, v120
	v_add_u32_e32 v77, 0x800, v120
	ds_read2_b64 v[96:99], v76 offset0:44 offset1:100
	ds_read2_b64 v[84:87], v77 offset0:80 offset1:136
	;; [unrolled: 1-line block ×4, first 2 shown]
	v_add_u32_e32 v80, 0x2000, v120
	ds_read2_b64 v[80:83], v80 offset0:12 offset1:68
	v_mov_b32_e32 v174, v168
	v_mov_b32_e32 v175, v168
	;; [unrolled: 1-line block ×4, first 2 shown]
	s_and_saveexec_b64 s[0:1], s[2:3]
	s_cbranch_execz .LBB0_27
; %bb.26:
	ds_read_b64 v[170:171], v120 offset:4480
	ds_read_b64 v[172:173], v120 offset:9184
.LBB0_27:
	s_or_b64 exec, exec, s[0:1]
	s_waitcnt lgkmcnt(8)
	v_pk_mul_f32 v[180:181], v[176:177], v[112:113]
	s_waitcnt lgkmcnt(0)
	v_pk_fma_f32 v[182:183], v[174:175], v[112:113], v[180:181] op_sel:[0,0,1] op_sel_hi:[1,1,0]
	v_pk_fma_f32 v[112:113], v[174:175], v[112:113], v[180:181] op_sel:[0,0,1] op_sel_hi:[1,1,0] neg_lo:[0,0,1] neg_hi:[0,0,1]
	; wave barrier
	s_nop 0
	v_mov_b32_e32 v183, v113
	v_pk_add_f32 v[112:113], v[108:109], v[182:183] neg_lo:[0,1] neg_hi:[0,1]
	v_mov_b32_e32 v118, v8
	v_pk_fma_f32 v[108:109], v[108:109], 2.0, v[112:113] op_sel_hi:[1,0,1] neg_lo:[0,0,1] neg_hi:[0,0,1]
	ds_write2_b64 v209, v[108:109], v[112:113] offset1:4
	v_pk_mul_f32 v[108:109], v[176:177], v[114:115]
	v_mov_b32_e32 v119, v8
	v_pk_fma_f32 v[112:113], v[174:175], v[114:115], v[108:109] op_sel:[0,0,1] op_sel_hi:[1,1,0]
	v_pk_fma_f32 v[108:109], v[174:175], v[114:115], v[108:109] op_sel:[0,0,1] op_sel_hi:[1,1,0] neg_lo:[0,0,1] neg_hi:[0,0,1]
	v_mov_b32_e32 v8, v9
	v_mov_b32_e32 v113, v109
	v_pk_add_f32 v[108:109], v[110:111], v[112:113] neg_lo:[0,1] neg_hi:[0,1]
	v_mov_b32_e32 v116, v10
	v_pk_fma_f32 v[110:111], v[110:111], 2.0, v[108:109] op_sel_hi:[1,0,1] neg_lo:[0,0,1] neg_hi:[0,0,1]
	ds_write2_b64 v208, v[110:111], v[108:109] offset1:4
	v_pk_mul_f32 v[108:109], v[176:177], v[104:105]
	v_mov_b32_e32 v117, v10
	v_pk_fma_f32 v[110:111], v[174:175], v[104:105], v[108:109] op_sel:[0,0,1] op_sel_hi:[1,1,0]
	v_pk_fma_f32 v[104:105], v[174:175], v[104:105], v[108:109] op_sel:[0,0,1] op_sel_hi:[1,1,0] neg_lo:[0,0,1] neg_hi:[0,0,1]
	v_mov_b32_e32 v10, v11
	v_mov_b32_e32 v111, v105
	v_pk_add_f32 v[104:105], v[100:101], v[110:111] neg_lo:[0,1] neg_hi:[0,1]
	s_nop 0
	v_pk_fma_f32 v[100:101], v[100:101], 2.0, v[104:105] op_sel_hi:[1,0,1] neg_lo:[0,0,1] neg_hi:[0,0,1]
	ds_write2_b64 v206, v[100:101], v[104:105] offset1:4
	v_pk_mul_f32 v[100:101], v[176:177], v[106:107]
	s_nop 0
	v_pk_fma_f32 v[104:105], v[174:175], v[106:107], v[100:101] op_sel:[0,0,1] op_sel_hi:[1,1,0]
	v_pk_fma_f32 v[100:101], v[174:175], v[106:107], v[100:101] op_sel:[0,0,1] op_sel_hi:[1,1,0] neg_lo:[0,0,1] neg_hi:[0,0,1]
	s_nop 0
	v_mov_b32_e32 v105, v101
	v_pk_add_f32 v[100:101], v[102:103], v[104:105] neg_lo:[0,1] neg_hi:[0,1]
	s_nop 0
	v_pk_fma_f32 v[102:103], v[102:103], 2.0, v[100:101] op_sel_hi:[1,0,1] neg_lo:[0,0,1] neg_hi:[0,0,1]
	ds_write2_b64 v202, v[102:103], v[100:101] offset1:4
	v_pk_mul_f32 v[100:101], v[176:177], v[96:97]
	s_nop 0
	v_pk_fma_f32 v[102:103], v[174:175], v[96:97], v[100:101] op_sel:[0,0,1] op_sel_hi:[1,1,0]
	v_pk_fma_f32 v[96:97], v[174:175], v[96:97], v[100:101] op_sel:[0,0,1] op_sel_hi:[1,1,0] neg_lo:[0,0,1] neg_hi:[0,0,1]
	s_nop 0
	;; [unrolled: 10-line block ×7, first 2 shown]
	v_mov_b32_e32 v81, v77
	v_pk_add_f32 v[76:77], v[78:79], v[80:81] neg_lo:[0,1] neg_hi:[0,1]
	s_nop 0
	v_pk_fma_f32 v[78:79], v[78:79], 2.0, v[76:77] op_sel_hi:[1,0,1] neg_lo:[0,0,1] neg_hi:[0,0,1]
	ds_write2_b64 v212, v[78:79], v[76:77] offset1:4
	s_and_saveexec_b64 s[0:1], s[2:3]
	s_cbranch_execz .LBB0_29
; %bb.28:
	s_movk_i32 s8, 0x4f8
	v_accvgpr_read_b32 v78, a0
	v_pk_mul_f32 v[76:77], v[168:169], v[172:173] op_sel:[0,1]
	v_and_or_b32 v78, v78, s8, v179
	v_lshlrev_b32_e32 v80, 3, v78
	v_pk_fma_f32 v[78:79], v[168:169], v[172:173], v[76:77] op_sel:[0,0,1] op_sel_hi:[1,1,0]
	v_pk_fma_f32 v[76:77], v[168:169], v[172:173], v[76:77] op_sel:[0,0,1] op_sel_hi:[1,0,0] neg_lo:[1,0,0] neg_hi:[1,0,0]
	s_nop 0
	v_mov_b32_e32 v79, v77
	v_pk_add_f32 v[76:77], v[170:171], v[78:79] neg_lo:[0,1] neg_hi:[0,1]
	s_nop 0
	v_pk_fma_f32 v[78:79], v[170:171], 2.0, v[76:77] op_sel_hi:[1,0,1] neg_lo:[0,0,1] neg_hi:[0,0,1]
	ds_write2_b64 v80, v[78:79], v[76:77] offset1:4
.LBB0_29:
	s_or_b64 exec, exec, s[0:1]
	v_add_u32_e32 v97, 0x1000, v120
	s_waitcnt lgkmcnt(0)
	; wave barrier
	s_waitcnt lgkmcnt(0)
	ds_read2_b64 v[76:79], v97 offset0:160 offset1:216
	v_add_u32_e32 v94, 0x800, v120
	ds_read2_b64 v[80:83], v94 offset0:80 offset1:136
	ds_read_b64 v[84:85], v120 offset:8960
	v_add_u32_e32 v98, 0x1c00, v120
	ds_read2_b64 v[100:103], v98 offset0:112 offset1:168
	s_waitcnt lgkmcnt(3)
	v_pk_mul_f32 v[86:87], v[8:9], v[78:79]
	v_add_u32_e32 v96, 0x400, v120
	v_pk_fma_f32 v[92:93], v[118:119], v[78:79], v[86:87] op_sel:[0,0,1] op_sel_hi:[1,1,0]
	v_pk_fma_f32 v[78:79], v[118:119], v[78:79], v[86:87] op_sel:[0,0,1] op_sel_hi:[1,1,0] neg_lo:[0,0,1] neg_hi:[0,0,1]
	s_waitcnt lgkmcnt(0)
	v_pk_mul_f32 v[104:105], v[10:11], v[102:103]
	v_mov_b32_e32 v93, v79
	v_pk_mul_f32 v[78:79], v[10:11], v[84:85]
	v_pk_fma_f32 v[170:171], v[116:117], v[102:103], v[104:105] op_sel:[0,0,1] op_sel_hi:[1,1,0]
	v_pk_fma_f32 v[112:113], v[116:117], v[84:85], v[78:79] op_sel:[0,0,1] op_sel_hi:[1,1,0]
	v_pk_fma_f32 v[78:79], v[116:117], v[84:85], v[78:79] op_sel:[0,0,1] op_sel_hi:[1,1,0] neg_lo:[0,0,1] neg_hi:[0,0,1]
	ds_read2_b64 v[84:87], v96 offset0:96 offset1:152
	v_mov_b32_e32 v113, v79
	v_pk_add_f32 v[78:79], v[80:81], v[92:93]
	v_pk_fma_f32 v[102:103], v[116:117], v[102:103], v[104:105] op_sel:[0,0,1] op_sel_hi:[1,1,0] neg_lo:[0,0,1] neg_hi:[0,0,1]
	v_pk_add_f32 v[114:115], v[78:79], v[112:113]
	v_pk_mul_f32 v[78:79], v[8:9], v[76:77]
	v_mov_b32_e32 v171, v103
	v_pk_fma_f32 v[168:169], v[118:119], v[76:77], v[78:79] op_sel:[0,0,1] op_sel_hi:[1,1,0]
	v_pk_fma_f32 v[76:77], v[118:119], v[76:77], v[78:79] op_sel:[0,0,1] op_sel_hi:[1,1,0] neg_lo:[0,0,1] neg_hi:[0,0,1]
	v_add_u32_e32 v95, 0x1800, v120
	v_mov_b32_e32 v169, v77
	ds_read2_b64 v[76:79], v97 offset0:48 offset1:104
	s_waitcnt lgkmcnt(1)
	v_pk_add_f32 v[102:103], v[86:87], v[168:169]
	ds_read2_b64 v[104:107], v95 offset0:128 offset1:184
	v_pk_add_f32 v[172:173], v[102:103], v[170:171]
	v_mad_u64_u32 v[90:91], s[0:1], s6, v142, 0
	s_waitcnt lgkmcnt(1)
	v_pk_mul_f32 v[102:103], v[8:9], v[78:79]
	s_waitcnt lgkmcnt(0)
	v_pk_mul_f32 v[108:109], v[10:11], v[106:107]
	v_pk_fma_f32 v[174:175], v[118:119], v[78:79], v[102:103] op_sel:[0,0,1] op_sel_hi:[1,1,0]
	v_pk_fma_f32 v[78:79], v[118:119], v[78:79], v[102:103] op_sel:[0,0,1] op_sel_hi:[1,1,0] neg_lo:[0,0,1] neg_hi:[0,0,1]
	v_pk_fma_f32 v[184:185], v[116:117], v[106:107], v[108:109] op_sel:[0,0,1] op_sel_hi:[1,1,0]
	v_mov_b32_e32 v175, v79
	v_pk_mul_f32 v[78:79], v[10:11], v[100:101]
	v_pk_fma_f32 v[106:107], v[116:117], v[106:107], v[108:109] op_sel:[0,0,1] op_sel_hi:[1,1,0] neg_lo:[0,0,1] neg_hi:[0,0,1]
	v_pk_fma_f32 v[176:177], v[116:117], v[100:101], v[78:79] op_sel:[0,0,1] op_sel_hi:[1,1,0]
	v_pk_fma_f32 v[78:79], v[116:117], v[100:101], v[78:79] op_sel:[0,0,1] op_sel_hi:[1,1,0] neg_lo:[0,0,1] neg_hi:[0,0,1]
	ds_read2_b64 v[100:103], v120 offset0:112 offset1:168
	v_mov_b32_e32 v177, v79
	v_pk_add_f32 v[78:79], v[84:85], v[174:175]
	v_mov_b32_e32 v185, v107
	v_pk_add_f32 v[180:181], v[78:79], v[176:177]
	v_pk_mul_f32 v[78:79], v[8:9], v[76:77]
	s_mov_b32 s0, 0x3f5db3d7
	v_pk_fma_f32 v[182:183], v[118:119], v[76:77], v[78:79] op_sel:[0,0,1] op_sel_hi:[1,1,0]
	v_pk_fma_f32 v[76:77], v[118:119], v[76:77], v[78:79] op_sel:[0,0,1] op_sel_hi:[1,1,0] neg_lo:[0,0,1] neg_hi:[0,0,1]
	v_mov_b32_e32 v88, s10
	v_mov_b32_e32 v183, v77
	ds_read2_b64 v[76:79], v94 offset0:192 offset1:248
	s_waitcnt lgkmcnt(1)
	v_pk_add_f32 v[106:107], v[102:103], v[182:183]
	v_mov_b32_e32 v89, s11
	v_pk_add_f32 v[186:187], v[106:107], v[184:185]
	s_mov_b32 s10, 0x3f08b237
	s_waitcnt lgkmcnt(0)
	v_pk_mul_f32 v[106:107], v[8:9], v[78:79]
	v_pk_mul_f32 v[204:205], v[8:9], v[76:77]
	v_pk_fma_f32 v[190:191], v[118:119], v[78:79], v[106:107] op_sel:[0,0,1] op_sel_hi:[1,1,0]
	v_pk_fma_f32 v[78:79], v[118:119], v[78:79], v[106:107] op_sel:[0,0,1] op_sel_hi:[1,1,0] neg_lo:[0,0,1] neg_hi:[0,0,1]
	v_pk_fma_f32 v[208:209], v[118:119], v[76:77], v[204:205] op_sel:[0,0,1] op_sel_hi:[1,1,0]
	v_mov_b32_e32 v191, v79
	v_pk_mul_f32 v[78:79], v[10:11], v[104:105]
	v_pk_fma_f32 v[76:77], v[118:119], v[76:77], v[204:205] op_sel:[0,0,1] op_sel_hi:[1,1,0] neg_lo:[0,0,1] neg_hi:[0,0,1]
	v_pk_fma_f32 v[198:199], v[116:117], v[104:105], v[78:79] op_sel:[0,0,1] op_sel_hi:[1,1,0]
	v_pk_fma_f32 v[78:79], v[116:117], v[104:105], v[78:79] op_sel:[0,0,1] op_sel_hi:[1,1,0] neg_lo:[0,0,1] neg_hi:[0,0,1]
	ds_read2_b64 v[104:107], v120 offset1:56
	ds_read2_b64 v[108:111], v95 offset0:16 offset1:72
	v_mov_b32_e32 v209, v77
	v_pk_mul_f32 v[8:9], v[8:9], v[82:83]
	s_waitcnt lgkmcnt(0)
	; wave barrier
	s_waitcnt lgkmcnt(0)
	v_pk_mul_f32 v[76:77], v[10:11], v[110:111]
	v_mov_b32_e32 v199, v79
	v_pk_fma_f32 v[204:205], v[116:117], v[110:111], v[76:77] op_sel:[0,0,1] op_sel_hi:[1,1,0]
	v_pk_fma_f32 v[76:77], v[116:117], v[110:111], v[76:77] op_sel:[0,0,1] op_sel_hi:[1,1,0] neg_lo:[0,0,1] neg_hi:[0,0,1]
	v_pk_fma_f32 v[110:111], v[118:119], v[82:83], v[8:9] op_sel:[0,0,1] op_sel_hi:[1,1,0]
	v_pk_fma_f32 v[8:9], v[118:119], v[82:83], v[8:9] op_sel:[0,0,1] op_sel_hi:[1,1,0] neg_lo:[0,0,1] neg_hi:[0,0,1]
	v_mov_b32_e32 v205, v77
	v_mov_b32_e32 v111, v9
	v_pk_mul_f32 v[8:9], v[10:11], v[108:109]
	v_pk_add_f32 v[76:77], v[106:107], v[208:209]
	v_pk_fma_f32 v[10:11], v[116:117], v[108:109], v[8:9] op_sel:[0,0,1] op_sel_hi:[1,1,0]
	v_pk_fma_f32 v[8:9], v[116:117], v[108:109], v[8:9] op_sel:[0,0,1] op_sel_hi:[1,1,0] neg_lo:[0,0,1] neg_hi:[0,0,1]
	v_pk_add_f32 v[76:77], v[76:77], v[204:205]
	v_mov_b32_e32 v11, v9
	v_pk_add_f32 v[8:9], v[104:105], v[110:111]
	v_pk_add_f32 v[82:83], v[110:111], v[10:11]
	;; [unrolled: 1-line block ×3, first 2 shown]
	v_pk_add_f32 v[10:11], v[110:111], v[10:11] neg_lo:[0,1] neg_hi:[0,1]
	v_pk_fma_f32 v[82:83], v[82:83], 0.5, v[104:105] op_sel_hi:[1,0,1] neg_lo:[1,0,0] neg_hi:[1,0,0]
	v_pk_mul_f32 v[10:11], v[10:11], s[0:1] op_sel_hi:[1,0]
	v_pk_add_f32 v[78:79], v[100:101], v[190:191]
	v_pk_add_f32 v[104:105], v[82:83], v[10:11] op_sel:[0,1] op_sel_hi:[1,0] neg_lo:[0,1] neg_hi:[0,1]
	v_pk_add_f32 v[10:11], v[82:83], v[10:11] op_sel:[0,1] op_sel_hi:[1,0]
	v_mov_b32_e32 v82, v104
	v_mov_b32_e32 v83, v11
	;; [unrolled: 1-line block ×3, first 2 shown]
	ds_write2_b64 v210, v[8:9], v[82:83] offset1:8
	ds_write_b64 v210, v[10:11] offset:128
	v_pk_add_f32 v[8:9], v[208:209], v[204:205]
	v_pk_add_f32 v[10:11], v[208:209], v[204:205] neg_lo:[0,1] neg_hi:[0,1]
	v_pk_fma_f32 v[8:9], v[8:9], 0.5, v[106:107] op_sel_hi:[1,0,1] neg_lo:[1,0,0] neg_hi:[1,0,0]
	v_pk_mul_f32 v[10:11], v[10:11], s[0:1] op_sel_hi:[1,0]
	v_pk_add_f32 v[78:79], v[78:79], v[198:199]
	v_pk_add_f32 v[82:83], v[8:9], v[10:11] op_sel:[0,1] op_sel_hi:[1,0] neg_lo:[0,1] neg_hi:[0,1]
	v_pk_add_f32 v[8:9], v[8:9], v[10:11] op_sel:[0,1] op_sel_hi:[1,0]
	v_mov_b32_e32 v10, v82
	v_mov_b32_e32 v11, v9
	;; [unrolled: 1-line block ×3, first 2 shown]
	ds_write2_b64 v207, v[76:77], v[10:11] offset1:8
	ds_write_b64 v207, v[8:9] offset:128
	v_pk_add_f32 v[8:9], v[190:191], v[198:199]
	v_pk_add_f32 v[10:11], v[190:191], v[198:199] neg_lo:[0,1] neg_hi:[0,1]
	v_pk_fma_f32 v[8:9], v[8:9], 0.5, v[100:101] op_sel_hi:[1,0,1] neg_lo:[1,0,0] neg_hi:[1,0,0]
	v_pk_mul_f32 v[10:11], v[10:11], s[0:1] op_sel_hi:[1,0]
	v_mov_b32_e32 v116, v33
	v_pk_add_f32 v[76:77], v[8:9], v[10:11] op_sel:[0,1] op_sel_hi:[1,0] neg_lo:[0,1] neg_hi:[0,1]
	v_pk_add_f32 v[8:9], v[8:9], v[10:11] op_sel:[0,1] op_sel_hi:[1,0]
	v_mov_b32_e32 v10, v76
	v_mov_b32_e32 v11, v9
	v_mov_b32_e32 v9, v77
	ds_write2_b64 v203, v[78:79], v[10:11] offset1:8
	ds_write_b64 v203, v[8:9] offset:128
	v_pk_add_f32 v[8:9], v[182:183], v[184:185]
	v_pk_add_f32 v[10:11], v[182:183], v[184:185] neg_lo:[0,1] neg_hi:[0,1]
	v_pk_fma_f32 v[8:9], v[8:9], 0.5, v[102:103] op_sel_hi:[1,0,1] neg_lo:[1,0,0] neg_hi:[1,0,0]
	v_pk_mul_f32 v[10:11], v[10:11], s[0:1] op_sel_hi:[1,0]
	s_mov_b32 s11, 0xbeae86e6
	v_pk_add_f32 v[76:77], v[8:9], v[10:11] op_sel:[0,1] op_sel_hi:[1,0] neg_lo:[0,1] neg_hi:[0,1]
	v_pk_add_f32 v[8:9], v[8:9], v[10:11] op_sel:[0,1] op_sel_hi:[1,0]
	v_mov_b32_e32 v10, v76
	v_mov_b32_e32 v11, v9
	v_mov_b32_e32 v9, v77
	ds_write2_b64 v200, v[186:187], v[10:11] offset1:8
	ds_write_b64 v200, v[8:9] offset:128
	v_pk_add_f32 v[8:9], v[174:175], v[176:177]
	v_pk_add_f32 v[10:11], v[174:175], v[176:177] neg_lo:[0,1] neg_hi:[0,1]
	v_pk_fma_f32 v[8:9], v[8:9], 0.5, v[84:85] op_sel_hi:[1,0,1] neg_lo:[1,0,0] neg_hi:[1,0,0]
	v_pk_mul_f32 v[10:11], v[10:11], s[0:1] op_sel_hi:[1,0]
	s_mov_b32 s8, s11
	;; [unrolled: 12-line block ×4, first 2 shown]
	v_pk_add_f32 v[76:77], v[8:9], v[10:11] op_sel:[0,1] op_sel_hi:[1,0] neg_lo:[0,1] neg_hi:[0,1]
	v_pk_add_f32 v[8:9], v[8:9], v[10:11] op_sel:[0,1] op_sel_hi:[1,0]
	v_mov_b32_e32 v10, v76
	v_mov_b32_e32 v11, v9
	v_mov_b32_e32 v9, v77
	ds_write2_b64 v192, v[114:115], v[10:11] offset1:8
	ds_write_b64 v192, v[8:9] offset:128
	s_waitcnt lgkmcnt(0)
	; wave barrier
	s_waitcnt lgkmcnt(0)
	ds_read2_b64 v[8:11], v120 offset0:112 offset1:168
	ds_read2_b64 v[100:103], v94 offset0:80 offset1:136
	;; [unrolled: 1-line block ×7, first 2 shown]
	ds_read_b64 v[92:93], v120 offset:8960
	ds_read2_b64 v[112:115], v97 offset0:160 offset1:216
	s_waitcnt lgkmcnt(5)
	v_pk_mul_f32 v[170:171], v[116:117], v[82:83] op_sel:[0,1] op_sel_hi:[1,0]
	v_pk_mul_f32 v[116:117], v[32:33], v[82:83] op_sel:[0,1] op_sel_hi:[1,0]
	v_pk_mul_f32 v[168:169], v[32:33], v[82:83]
	v_mov_b32_e32 v116, v117
	v_pk_fma_f32 v[172:173], v[32:33], v[82:83], v[116:117] op_sel:[0,1,0] op_sel_hi:[1,0,1] neg_lo:[0,0,1] neg_hi:[0,0,1]
	ds_read2_b64 v[116:119], v97 offset0:48 offset1:104
	v_mov_b32_e32 v32, v35
	s_waitcnt lgkmcnt(1)
	v_pk_mul_f32 v[176:177], v[32:33], v[112:113] op_sel:[0,1] op_sel_hi:[1,0]
	v_pk_mul_f32 v[32:33], v[34:35], v[112:113] op_sel:[0,1] op_sel_hi:[1,0]
	v_pk_mul_f32 v[174:175], v[34:35], v[112:113]
	v_mov_b32_e32 v32, v33
	v_pk_fma_f32 v[180:181], v[34:35], v[112:113], v[32:33] op_sel:[0,1,0] op_sel_hi:[1,0,1] neg_lo:[0,0,1] neg_hi:[0,0,1]
	v_mov_b32_e32 v32, v37
	s_waitcnt lgkmcnt(0)
	v_pk_mul_f32 v[184:185], v[32:33], v[116:117] op_sel:[0,1] op_sel_hi:[1,0]
	v_pk_mul_f32 v[32:33], v[36:37], v[116:117] op_sel:[0,1] op_sel_hi:[1,0]
	v_pk_mul_f32 v[182:183], v[36:37], v[116:117]
	v_mov_b32_e32 v32, v33
	v_pk_fma_f32 v[116:117], v[36:37], v[116:117], v[32:33] op_sel:[0,1,0] op_sel_hi:[1,0,1] neg_lo:[0,0,1] neg_hi:[0,0,1]
	v_mov_b32_e32 v32, v39
	v_pk_mul_f32 v[190:191], v[32:33], v[114:115] op_sel:[0,1] op_sel_hi:[1,0]
	v_pk_mul_f32 v[32:33], v[38:39], v[114:115] op_sel:[0,1] op_sel_hi:[1,0]
	v_mov_b32_e32 v34, v43
	v_mov_b32_e32 v32, v33
	v_pk_fma_f32 v[192:193], v[38:39], v[114:115], v[32:33] op_sel:[0,1,0] op_sel_hi:[1,0,1] neg_lo:[0,0,1] neg_hi:[0,0,1]
	v_mov_b32_e32 v32, v41
	v_pk_mul_f32 v[186:187], v[38:39], v[114:115]
	v_pk_mul_f32 v[38:39], v[32:33], v[118:119] op_sel:[0,1] op_sel_hi:[1,0]
	v_pk_mul_f32 v[32:33], v[40:41], v[118:119] op_sel:[0,1] op_sel_hi:[1,0]
	;; [unrolled: 1-line block ×4, first 2 shown]
	v_mov_b32_e32 v32, v33
	v_mov_b32_e32 v34, v35
	v_pk_mul_f32 v[36:37], v[40:41], v[118:119]
	v_pk_fma_f32 v[32:33], v[40:41], v[118:119], v[32:33] op_sel:[0,1,0] op_sel_hi:[1,0,1] neg_lo:[0,0,1] neg_hi:[0,0,1]
	v_pk_mul_f32 v[40:41], v[42:43], v[104:105]
	v_pk_fma_f32 v[34:35], v[42:43], v[104:105], v[34:35] op_sel:[0,1,0] op_sel_hi:[1,0,1] neg_lo:[0,0,1] neg_hi:[0,0,1]
	v_pk_mul_f32 v[104:105], v[28:29], v[10:11] op_sel_hi:[1,0]
	v_mov_b32_e32 v42, v11
	v_pk_fma_f32 v[10:11], v[28:29], v[10:11], v[104:105] op_sel:[0,1,1] op_sel_hi:[1,1,0]
	v_pk_fma_f32 v[42:43], v[28:29], v[42:43], v[104:105] op_sel:[0,0,1] op_sel_hi:[1,1,0] neg_lo:[0,0,1] neg_hi:[0,0,1]
	v_mov_b32_e32 v10, v101
	v_pk_mul_f32 v[28:29], v[30:31], v[100:101] op_sel_hi:[1,0]
	v_mov_b32_e32 v43, v11
	v_pk_fma_f32 v[10:11], v[30:31], v[10:11], v[28:29] op_sel:[0,0,1] op_sel_hi:[1,1,0] neg_lo:[0,0,1] neg_hi:[0,0,1]
	v_pk_fma_f32 v[28:29], v[30:31], v[100:101], v[28:29] op_sel:[0,1,1] op_sel_hi:[1,1,0]
	v_pk_mul_f32 v[30:31], v[20:21], v[106:107] op_sel_hi:[1,0]
	v_mov_b32_e32 v28, v107
	v_mov_b32_e32 v11, v29
	v_pk_fma_f32 v[28:29], v[20:21], v[28:29], v[30:31] op_sel:[0,0,1] op_sel_hi:[1,1,0] neg_lo:[0,0,1] neg_hi:[0,0,1]
	v_pk_fma_f32 v[20:21], v[20:21], v[106:107], v[30:31] op_sel:[0,1,1] op_sel_hi:[1,1,0]
	v_pk_mul_f32 v[30:31], v[22:23], v[108:109] op_sel_hi:[1,0]
	v_mov_b32_e32 v20, v109
	v_mov_b32_e32 v29, v21
	v_pk_fma_f32 v[20:21], v[22:23], v[20:21], v[30:31] op_sel:[0,0,1] op_sel_hi:[1,1,0] neg_lo:[0,0,1] neg_hi:[0,0,1]
	v_pk_fma_f32 v[22:23], v[22:23], v[108:109], v[30:31] op_sel:[0,1,1] op_sel_hi:[1,1,0]
	v_mov_b32_e32 v175, v42
	v_mov_b32_e32 v21, v23
	;; [unrolled: 1-line block ×5, first 2 shown]
	v_pk_add_f32 v[22:23], v[42:43], v[20:21]
	v_pk_add_f32 v[30:31], v[42:43], v[20:21] neg_lo:[0,1] neg_hi:[0,1]
	v_pk_add_f32 v[100:101], v[10:11], v[28:29]
	v_pk_add_f32 v[104:105], v[10:11], v[28:29] neg_lo:[0,1] neg_hi:[0,1]
	v_pk_add_f32 v[20:21], v[174:175], v[176:177]
	v_pk_add_f32 v[10:11], v[168:169], v[170:171]
	v_mov_b32_e32 v181, v20
	v_mov_b32_e32 v173, v10
	ds_read2_b64 v[112:115], v120 offset1:56
	v_pk_add_f32 v[28:29], v[180:181], v[172:173] neg_lo:[0,1] neg_hi:[0,1]
	v_mov_b32_e32 v118, v101
	v_mov_b32_e32 v119, v172
	;; [unrolled: 1-line block ×8, first 2 shown]
	v_pk_add_f32 v[118:119], v[118:119], v[168:169]
	v_pk_add_f32 v[168:169], v[10:11], v[20:21]
	v_pk_add_f32 v[42:43], v[42:43], v[106:107] neg_lo:[0,1] neg_hi:[0,1]
	v_mov_b32_e32 v106, v30
	v_mov_b32_e32 v108, v28
	;; [unrolled: 1-line block ×9, first 2 shown]
	v_pk_add_f32 v[106:107], v[106:107], v[108:109] neg_lo:[0,1] neg_hi:[0,1]
	v_pk_add_f32 v[170:171], v[20:21], v[170:171] neg_lo:[0,1] neg_hi:[0,1]
	;; [unrolled: 1-line block ×3, first 2 shown]
	s_mov_b32 s19, s16
	v_pk_mul_f32 v[42:43], v[42:43], s[10:11]
	v_pk_mul_f32 v[108:109], v[106:107], s[8:9]
	v_pk_add_f32 v[28:29], v[28:29], v[104:105]
	v_pk_add_f32 v[118:119], v[118:119], v[168:169]
	v_pk_mul_f32 v[168:169], v[170:171], s[16:17]
	v_pk_mul_f32 v[170:171], v[172:173], s[18:19]
	v_mov_b32_e32 v10, v101
	v_mov_b32_e32 v20, v23
	v_pk_add_f32 v[28:29], v[28:29], v[30:31]
	s_waitcnt lgkmcnt(0)
	v_pk_add_f32 v[112:113], v[112:113], v[118:119]
	s_mov_b32 s14, 0x3f955555
	v_pk_fma_f32 v[172:173], v[172:173], s[18:19], v[168:169]
	v_pk_fma_f32 v[106:107], v[106:107], s[8:9], v[42:43]
	v_pk_add_f32 v[30:31], v[104:105], v[30:31] neg_lo:[0,1] neg_hi:[0,1]
	s_mov_b32 s6, 0xbf5ff5aa
	v_pk_add_f32 v[10:11], v[10:11], v[20:21] neg_lo:[0,1] neg_hi:[0,1]
	s_mov_b32 s12, 0x3f3bfb3b
	v_mov_b32_e32 v20, v170
	v_mov_b32_e32 v21, v169
	;; [unrolled: 1-line block ×6, first 2 shown]
	s_mov_b32 s0, 0xbee1c552
	v_pk_fma_f32 v[118:119], v[118:119], s[14:15], v[112:113] op_sel_hi:[1,0,1] neg_lo:[1,0,0] neg_hi:[1,0,0]
	v_pk_fma_f32 v[20:21], v[10:11], s[12:13], v[20:21] op_sel_hi:[1,0,1] neg_lo:[1,0,1] neg_hi:[1,0,1]
	;; [unrolled: 1-line block ×5, first 2 shown]
	v_pk_fma_f32 v[106:107], v[28:29], s[0:1], v[106:107] op_sel_hi:[1,0,1]
	v_pk_add_f32 v[20:21], v[20:21], v[118:119]
	v_pk_fma_f32 v[22:23], v[28:29], s[0:1], v[22:23] op_sel_hi:[1,0,1]
	v_pk_add_f32 v[10:11], v[10:11], v[118:119]
	;; [unrolled: 2-line block ×3, first 2 shown]
	v_pk_add_f32 v[20:21], v[20:21], v[22:23] neg_lo:[0,1] neg_hi:[0,1]
	v_pk_add_f32 v[30:31], v[10:11], v[28:29] neg_lo:[0,1] neg_hi:[0,1]
	v_pk_add_f32 v[10:11], v[10:11], v[28:29]
	v_mov_b32_e32 v23, v21
	v_mov_b32_e32 v29, v11
	;; [unrolled: 1-line block ×4, first 2 shown]
	s_waitcnt lgkmcnt(0)
	; wave barrier
	ds_write2_b64 v213, v[10:11], v[20:21] offset0:96 offset1:120
	v_mov_b32_e32 v10, v85
	v_pk_mul_f32 v[20:21], v[16:17], v[84:85] op_sel_hi:[1,0]
	v_mov_b32_e32 v22, v100
	v_pk_fma_f32 v[10:11], v[16:17], v[10:11], v[20:21] op_sel:[0,0,1] op_sel_hi:[1,1,0] neg_lo:[0,0,1] neg_hi:[0,0,1]
	v_pk_fma_f32 v[16:17], v[16:17], v[84:85], v[20:21] op_sel:[0,1,1] op_sel_hi:[1,1,0]
	v_pk_mul_f32 v[20:21], v[18:19], v[102:103] op_sel_hi:[1,0]
	v_mov_b32_e32 v16, v103
	v_mov_b32_e32 v11, v17
	v_pk_fma_f32 v[16:17], v[18:19], v[16:17], v[20:21] op_sel:[0,0,1] op_sel_hi:[1,1,0] neg_lo:[0,0,1] neg_hi:[0,0,1]
	v_pk_fma_f32 v[18:19], v[18:19], v[102:103], v[20:21] op_sel:[0,1,1] op_sel_hi:[1,1,0]
	v_pk_mul_f32 v[20:21], v[12:13], v[76:77] op_sel_hi:[1,0]
	v_mov_b32_e32 v18, v77
	;; [unrolled: 5-line block ×3, first 2 shown]
	v_mov_b32_e32 v19, v13
	v_pk_fma_f32 v[12:13], v[14:15], v[12:13], v[20:21] op_sel:[0,0,1] op_sel_hi:[1,1,0] neg_lo:[0,0,1] neg_hi:[0,0,1]
	v_pk_fma_f32 v[14:15], v[14:15], v[110:111], v[20:21] op_sel:[0,1,1] op_sel_hi:[1,1,0]
	v_mov_b32_e32 v187, v10
	v_mov_b32_e32 v13, v15
	;; [unrolled: 1-line block ×6, first 2 shown]
	v_pk_add_f32 v[14:15], v[10:11], v[12:13]
	v_pk_add_f32 v[20:21], v[10:11], v[12:13] neg_lo:[0,1] neg_hi:[0,1]
	v_pk_add_f32 v[10:11], v[186:187], v[190:191]
	v_pk_add_f32 v[12:13], v[182:183], v[184:185]
	ds_write2_b64 v213, v[22:23], v[28:29] offset0:48 offset1:72
	v_pk_add_f32 v[22:23], v[16:17], v[18:19]
	v_mov_b32_e32 v193, v10
	v_mov_b32_e32 v117, v12
	v_pk_add_f32 v[28:29], v[16:17], v[18:19] neg_lo:[0,1] neg_hi:[0,1]
	v_pk_add_f32 v[16:17], v[192:193], v[116:117] neg_lo:[0,1] neg_hi:[0,1]
	v_mov_b32_e32 v76, v23
	v_mov_b32_e32 v77, v116
	;; [unrolled: 1-line block ×8, first 2 shown]
	v_pk_add_f32 v[76:77], v[76:77], v[84:85]
	v_pk_add_f32 v[84:85], v[12:13], v[10:11]
	v_pk_add_f32 v[18:19], v[18:19], v[30:31] neg_lo:[0,1] neg_hi:[0,1]
	v_mov_b32_e32 v30, v20
	v_mov_b32_e32 v42, v16
	;; [unrolled: 1-line block ×9, first 2 shown]
	v_pk_add_f32 v[30:31], v[30:31], v[42:43] neg_lo:[0,1] neg_hi:[0,1]
	v_pk_add_f32 v[100:101], v[10:11], v[100:101] neg_lo:[0,1] neg_hi:[0,1]
	;; [unrolled: 1-line block ×3, first 2 shown]
	v_pk_mul_f32 v[18:19], v[18:19], s[10:11]
	v_pk_mul_f32 v[42:43], v[30:31], s[8:9]
	v_pk_add_f32 v[16:17], v[16:17], v[28:29]
	v_pk_add_f32 v[76:77], v[76:77], v[84:85]
	v_pk_mul_f32 v[100:101], v[100:101], s[16:17]
	v_pk_mul_f32 v[104:105], v[102:103], s[18:19]
	v_mov_b32_e32 v12, v23
	v_mov_b32_e32 v10, v15
	v_pk_add_f32 v[16:17], v[16:17], v[20:21]
	v_pk_add_f32 v[84:85], v[114:115], v[76:77]
	v_pk_fma_f32 v[102:103], v[102:103], s[18:19], v[100:101]
	v_pk_fma_f32 v[30:31], v[30:31], s[8:9], v[18:19]
	v_pk_add_f32 v[20:21], v[28:29], v[20:21] neg_lo:[0,1] neg_hi:[0,1]
	v_pk_add_f32 v[10:11], v[12:13], v[10:11] neg_lo:[0,1] neg_hi:[0,1]
	v_mov_b32_e32 v12, v104
	v_mov_b32_e32 v13, v101
	;; [unrolled: 1-line block ×6, first 2 shown]
	v_pk_fma_f32 v[76:77], v[76:77], s[14:15], v[84:85] op_sel_hi:[1,0,1] neg_lo:[1,0,0] neg_hi:[1,0,0]
	v_pk_fma_f32 v[12:13], v[10:11], s[12:13], v[12:13] op_sel_hi:[1,0,1] neg_lo:[1,0,1] neg_hi:[1,0,1]
	;; [unrolled: 1-line block ×5, first 2 shown]
	v_pk_add_f32 v[172:173], v[172:173], v[118:119]
	v_pk_fma_f32 v[30:31], v[16:17], s[0:1], v[30:31] op_sel_hi:[1,0,1]
	v_pk_add_f32 v[12:13], v[12:13], v[76:77]
	v_pk_fma_f32 v[14:15], v[16:17], s[0:1], v[14:15] op_sel_hi:[1,0,1]
	v_pk_add_f32 v[10:11], v[10:11], v[76:77]
	v_pk_fma_f32 v[16:17], v[16:17], s[0:1], v[18:19] op_sel_hi:[1,0,1]
	v_pk_add_f32 v[174:175], v[172:173], v[106:107]
	v_pk_add_f32 v[106:107], v[172:173], v[106:107] neg_lo:[0,1] neg_hi:[0,1]
	v_pk_add_f32 v[22:23], v[12:13], v[14:15]
	v_pk_add_f32 v[12:13], v[12:13], v[14:15] neg_lo:[0,1] neg_hi:[0,1]
	v_pk_add_f32 v[18:19], v[10:11], v[16:17] neg_lo:[0,1] neg_hi:[0,1]
	v_pk_add_f32 v[10:11], v[10:11], v[16:17]
	v_mov_b32_e32 v172, v174
	v_mov_b32_e32 v173, v107
	;; [unrolled: 1-line block ×7, first 2 shown]
	ds_write2_b64 v213, v[112:113], v[172:173] offset1:24
	ds_write_b64 v213, v[106:107] offset:1152
	ds_write2_b64 v188, v[10:11], v[12:13] offset0:96 offset1:120
	v_mov_b32_e32 v10, v87
	v_pk_mul_f32 v[12:13], v[4:5], v[86:87] op_sel_hi:[1,0]
	v_mov_b32_e32 v14, v22
	v_pk_fma_f32 v[10:11], v[4:5], v[10:11], v[12:13] op_sel:[0,0,1] op_sel_hi:[1,1,0] neg_lo:[0,0,1] neg_hi:[0,0,1]
	v_pk_fma_f32 v[4:5], v[4:5], v[86:87], v[12:13] op_sel:[0,1,1] op_sel_hi:[1,1,0]
	v_pk_mul_f32 v[12:13], v[6:7], v[80:81] op_sel_hi:[1,0]
	v_mov_b32_e32 v4, v81
	v_mov_b32_e32 v11, v5
	v_pk_fma_f32 v[4:5], v[6:7], v[4:5], v[12:13] op_sel:[0,0,1] op_sel_hi:[1,1,0] neg_lo:[0,0,1] neg_hi:[0,0,1]
	v_pk_fma_f32 v[6:7], v[6:7], v[80:81], v[12:13] op_sel:[0,1,1] op_sel_hi:[1,1,0]
	v_pk_mul_f32 v[12:13], v[0:1], v[78:79] op_sel_hi:[1,0]
	v_mov_b32_e32 v6, v79
	;; [unrolled: 5-line block ×3, first 2 shown]
	v_mov_b32_e32 v7, v1
	v_pk_fma_f32 v[0:1], v[2:3], v[0:1], v[12:13] op_sel:[0,0,1] op_sel_hi:[1,1,0] neg_lo:[0,0,1] neg_hi:[0,0,1]
	v_pk_fma_f32 v[2:3], v[2:3], v[92:93], v[12:13] op_sel:[0,1,1] op_sel_hi:[1,1,0]
	v_mov_b32_e32 v16, v18
	v_mov_b32_e32 v1, v3
	;; [unrolled: 1-line block ×6, first 2 shown]
	v_pk_add_f32 v[102:103], v[102:103], v[76:77]
	ds_write2_b64 v188, v[14:15], v[16:17] offset0:48 offset1:72
	v_pk_add_f32 v[2:3], v[10:11], v[0:1]
	v_pk_add_f32 v[12:13], v[10:11], v[0:1] neg_lo:[0,1] neg_hi:[0,1]
	v_pk_add_f32 v[14:15], v[4:5], v[6:7]
	v_pk_add_f32 v[16:17], v[4:5], v[6:7] neg_lo:[0,1] neg_hi:[0,1]
	v_pk_add_f32 v[0:1], v[40:41], v[82:83]
	v_pk_add_f32 v[4:5], v[36:37], v[38:39]
	;; [unrolled: 1-line block ×3, first 2 shown]
	v_pk_add_f32 v[30:31], v[102:103], v[30:31] neg_lo:[0,1] neg_hi:[0,1]
	v_mov_b32_e32 v35, v0
	v_mov_b32_e32 v33, v4
	;; [unrolled: 1-line block ×8, first 2 shown]
	v_pk_add_f32 v[6:7], v[34:35], v[32:33] neg_lo:[0,1] neg_hi:[0,1]
	v_pk_add_f32 v[22:23], v[22:23], v[28:29]
	v_pk_add_f32 v[28:29], v[4:5], v[0:1]
	ds_write_b64 v188, v[30:31] offset:1152
	v_mov_b32_e32 v10, v6
	v_mov_b32_e32 v11, v13
	;; [unrolled: 1-line block ×7, first 2 shown]
	v_pk_add_f32 v[10:11], v[10:11], v[18:19] neg_lo:[0,1] neg_hi:[0,1]
	v_mov_b32_e32 v18, v12
	v_mov_b32_e32 v20, v6
	;; [unrolled: 1-line block ×3, first 2 shown]
	v_pk_add_f32 v[30:31], v[0:1], v[30:31] neg_lo:[0,1] neg_hi:[0,1]
	v_mov_b32_e32 v32, v3
	v_mov_b32_e32 v33, v23
	v_mov_b32_e32 v4, v28
	v_pk_add_f32 v[22:23], v[22:23], v[28:29]
	v_pk_mul_f32 v[10:11], v[10:11], s[10:11]
	v_pk_add_f32 v[18:19], v[18:19], v[20:21] neg_lo:[0,1] neg_hi:[0,1]
	v_pk_add_f32 v[6:7], v[6:7], v[16:17]
	v_pk_add_f32 v[32:33], v[32:33], v[4:5] neg_lo:[0,1] neg_hi:[0,1]
	v_pk_add_f32 v[8:9], v[8:9], v[22:23]
	v_pk_mul_f32 v[28:29], v[30:31], s[16:17]
	v_pk_mul_f32 v[20:21], v[18:19], s[8:9]
	v_pk_add_f32 v[6:7], v[6:7], v[12:13]
	v_pk_mul_f32 v[30:31], v[32:33], s[18:19]
	v_pk_fma_f32 v[22:23], v[22:23], s[14:15], v[8:9] op_sel_hi:[1,0,1] neg_lo:[1,0,0] neg_hi:[1,0,0]
	v_pk_fma_f32 v[32:33], v[32:33], s[18:19], v[28:29]
	v_pk_fma_f32 v[18:19], v[18:19], s[8:9], v[10:11]
	v_pk_add_f32 v[32:33], v[32:33], v[22:23]
	v_pk_fma_f32 v[18:19], v[6:7], s[0:1], v[18:19] op_sel_hi:[1,0,1]
	v_mov_b32_e32 v102, v106
	v_pk_add_f32 v[34:35], v[32:33], v[18:19]
	v_pk_add_f32 v[18:19], v[32:33], v[18:19] neg_lo:[0,1] neg_hi:[0,1]
	v_mov_b32_e32 v32, v34
	v_mov_b32_e32 v33, v19
	;; [unrolled: 1-line block ×4, first 2 shown]
	ds_write2_b64 v188, v[84:85], v[102:103] offset1:24
	ds_write2_b64 v178, v[8:9], v[32:33] offset1:24
	v_pk_add_f32 v[8:9], v[16:17], v[12:13] neg_lo:[0,1] neg_hi:[0,1]
	v_pk_add_f32 v[0:1], v[4:5], v[0:1] neg_lo:[0,1] neg_hi:[0,1]
	v_mov_b32_e32 v2, v30
	v_mov_b32_e32 v3, v29
	;; [unrolled: 1-line block ×6, first 2 shown]
	v_pk_fma_f32 v[2:3], v[0:1], s[12:13], v[2:3] op_sel_hi:[1,0,1] neg_lo:[1,0,1] neg_hi:[1,0,1]
	v_pk_fma_f32 v[4:5], v[8:9], s[6:7], v[4:5] op_sel_hi:[1,0,1] neg_lo:[1,0,1] neg_hi:[1,0,1]
	;; [unrolled: 1-line block ×4, first 2 shown]
	v_pk_add_f32 v[2:3], v[2:3], v[22:23]
	v_pk_fma_f32 v[4:5], v[6:7], s[0:1], v[4:5] op_sel_hi:[1,0,1]
	v_pk_add_f32 v[0:1], v[0:1], v[22:23]
	v_pk_fma_f32 v[6:7], v[6:7], s[0:1], v[8:9] op_sel_hi:[1,0,1]
	v_pk_add_f32 v[12:13], v[2:3], v[4:5]
	v_pk_add_f32 v[2:3], v[2:3], v[4:5] neg_lo:[0,1] neg_hi:[0,1]
	v_pk_add_f32 v[8:9], v[0:1], v[6:7] neg_lo:[0,1] neg_hi:[0,1]
	v_pk_add_f32 v[0:1], v[0:1], v[6:7]
	v_mov_b32_e32 v4, v12
	v_mov_b32_e32 v5, v3
	v_mov_b32_e32 v6, v8
	v_mov_b32_e32 v7, v1
	v_mov_b32_e32 v1, v9
	v_mov_b32_e32 v3, v13
	v_mov_b32_e32 v19, v35
	ds_write2_b64 v178, v[4:5], v[6:7] offset0:48 offset1:72
	ds_write2_b64 v178, v[0:1], v[2:3] offset0:96 offset1:120
	ds_write_b64 v178, v[18:19] offset:1152
	s_waitcnt lgkmcnt(0)
	; wave barrier
	s_waitcnt lgkmcnt(0)
	ds_read2_b64 v[0:3], v120 offset0:112 offset1:168
	ds_read2_b64 v[32:35], v94 offset0:80 offset1:136
	;; [unrolled: 1-line block ×7, first 2 shown]
	ds_read_b64 v[16:17], v120 offset:8960
	ds_read2_b64 v[18:21], v97 offset0:160 offset1:216
	v_mov_b32_e32 v22, v61
	s_waitcnt lgkmcnt(5)
	v_pk_mul_f32 v[78:79], v[22:23], v[10:11] op_sel:[0,1] op_sel_hi:[1,0]
	v_pk_mul_f32 v[22:23], v[60:61], v[10:11] op_sel:[0,1] op_sel_hi:[1,0]
	ds_read2_b64 v[28:31], v97 offset0:48 offset1:104
	v_mov_b32_e32 v22, v23
	v_pk_mul_f32 v[76:77], v[60:61], v[10:11]
	v_pk_fma_f32 v[80:81], v[60:61], v[10:11], v[22:23] op_sel:[0,1,0] op_sel_hi:[1,0,1] neg_lo:[0,0,1] neg_hi:[0,0,1]
	v_mov_b32_e32 v10, v63
	s_waitcnt lgkmcnt(1)
	v_pk_mul_f32 v[84:85], v[10:11], v[18:19] op_sel:[0,1] op_sel_hi:[1,0]
	v_pk_mul_f32 v[10:11], v[62:63], v[18:19] op_sel:[0,1] op_sel_hi:[1,0]
	s_waitcnt lgkmcnt(0)
	v_pk_mul_f32 v[92:93], v[64:65], v[28:29]
	v_mov_b32_e32 v10, v11
	v_pk_fma_f32 v[86:87], v[62:63], v[18:19], v[10:11] op_sel:[0,1,0] op_sel_hi:[1,0,1] neg_lo:[0,0,1] neg_hi:[0,0,1]
	v_mov_b32_e32 v10, v65
	v_pk_mul_f32 v[98:99], v[10:11], v[28:29] op_sel:[0,1] op_sel_hi:[1,0]
	v_pk_mul_f32 v[10:11], v[64:65], v[28:29] op_sel:[0,1] op_sel_hi:[1,0]
	v_pk_mul_f32 v[100:101], v[66:67], v[20:21]
	v_mov_b32_e32 v10, v11
	v_pk_fma_f32 v[64:65], v[64:65], v[28:29], v[10:11] op_sel:[0,1,0] op_sel_hi:[1,0,1] neg_lo:[0,0,1] neg_hi:[0,0,1]
	v_mov_b32_e32 v10, v67
	v_pk_mul_f32 v[102:103], v[10:11], v[20:21] op_sel:[0,1] op_sel_hi:[1,0]
	v_pk_mul_f32 v[10:11], v[66:67], v[20:21] op_sel:[0,1] op_sel_hi:[1,0]
	;; [unrolled: 6-line block ×3, first 2 shown]
	v_mov_b32_e32 v18, v71
	v_mov_b32_e32 v10, v11
	v_pk_mul_f32 v[20:21], v[68:69], v[30:31]
	v_pk_fma_f32 v[10:11], v[68:69], v[30:31], v[10:11] op_sel:[0,1,0] op_sel_hi:[1,0,1] neg_lo:[0,0,1] neg_hi:[0,0,1]
	v_pk_mul_f32 v[30:31], v[18:19], v[36:37] op_sel:[0,1] op_sel_hi:[1,0]
	v_pk_mul_f32 v[18:19], v[70:71], v[36:37] op_sel:[0,1] op_sel_hi:[1,0]
	v_pk_mul_f32 v[68:69], v[56:57], v[2:3] op_sel_hi:[1,0]
	v_mov_b32_e32 v18, v19
	v_pk_mul_f32 v[28:29], v[70:71], v[36:37]
	v_pk_fma_f32 v[18:19], v[70:71], v[36:37], v[18:19] op_sel:[0,1,0] op_sel_hi:[1,0,1] neg_lo:[0,0,1] neg_hi:[0,0,1]
	v_mov_b32_e32 v36, v3
	v_pk_fma_f32 v[2:3], v[56:57], v[2:3], v[68:69] op_sel:[0,1,1] op_sel_hi:[1,1,0]
	v_pk_fma_f32 v[36:37], v[56:57], v[36:37], v[68:69] op_sel:[0,0,1] op_sel_hi:[1,1,0] neg_lo:[0,0,1] neg_hi:[0,0,1]
	v_mov_b32_e32 v2, v33
	v_pk_mul_f32 v[56:57], v[58:59], v[32:33] op_sel_hi:[1,0]
	v_mov_b32_e32 v37, v3
	v_pk_fma_f32 v[2:3], v[58:59], v[2:3], v[56:57] op_sel:[0,0,1] op_sel_hi:[1,1,0] neg_lo:[0,0,1] neg_hi:[0,0,1]
	v_pk_fma_f32 v[32:33], v[58:59], v[32:33], v[56:57] op_sel:[0,1,1] op_sel_hi:[1,1,0]
	v_pk_mul_f32 v[56:57], v[52:53], v[38:39] op_sel_hi:[1,0]
	v_mov_b32_e32 v32, v39
	v_pk_fma_f32 v[38:39], v[52:53], v[38:39], v[56:57] op_sel:[0,1,1] op_sel_hi:[1,1,0]
	v_mov_b32_e32 v3, v33
	v_pk_fma_f32 v[32:33], v[52:53], v[32:33], v[56:57] op_sel:[0,0,1] op_sel_hi:[1,1,0] neg_lo:[0,0,1] neg_hi:[0,0,1]
	v_mov_b32_e32 v38, v41
	v_pk_mul_f32 v[52:53], v[54:55], v[40:41] op_sel_hi:[1,0]
	v_mov_b32_e32 v33, v39
	v_pk_fma_f32 v[38:39], v[54:55], v[38:39], v[52:53] op_sel:[0,0,1] op_sel_hi:[1,1,0] neg_lo:[0,0,1] neg_hi:[0,0,1]
	v_pk_fma_f32 v[40:41], v[54:55], v[40:41], v[52:53] op_sel:[0,1,1] op_sel_hi:[1,1,0]
	v_mov_b32_e32 v83, v36
	v_mov_b32_e32 v39, v41
	;; [unrolled: 1-line block ×5, first 2 shown]
	v_pk_add_f32 v[40:41], v[36:37], v[38:39]
	v_pk_add_f32 v[52:53], v[36:37], v[38:39] neg_lo:[0,1] neg_hi:[0,1]
	v_pk_add_f32 v[54:55], v[2:3], v[32:33]
	v_pk_add_f32 v[56:57], v[2:3], v[32:33] neg_lo:[0,1] neg_hi:[0,1]
	v_pk_add_f32 v[36:37], v[82:83], v[84:85]
	v_pk_add_f32 v[2:3], v[76:77], v[78:79]
	v_mov_b32_e32 v87, v36
	v_mov_b32_e32 v81, v2
	ds_read2_b64 v[60:63], v120 offset1:56
	v_pk_add_f32 v[32:33], v[86:87], v[80:81] neg_lo:[0,1] neg_hi:[0,1]
	v_mov_b32_e32 v70, v55
	v_mov_b32_e32 v71, v80
	;; [unrolled: 1-line block ×8, first 2 shown]
	v_pk_add_f32 v[70:71], v[70:71], v[76:77]
	v_pk_add_f32 v[76:77], v[2:3], v[36:37]
	v_pk_add_f32 v[38:39], v[38:39], v[58:59] neg_lo:[0,1] neg_hi:[0,1]
	v_mov_b32_e32 v58, v52
	v_mov_b32_e32 v68, v32
	;; [unrolled: 1-line block ×9, first 2 shown]
	v_pk_add_f32 v[58:59], v[58:59], v[68:69] neg_lo:[0,1] neg_hi:[0,1]
	v_pk_add_f32 v[78:79], v[36:37], v[78:79] neg_lo:[0,1] neg_hi:[0,1]
	;; [unrolled: 1-line block ×3, first 2 shown]
	v_pk_mul_f32 v[38:39], v[38:39], s[10:11]
	v_pk_mul_f32 v[68:69], v[58:59], s[8:9]
	v_pk_add_f32 v[32:33], v[32:33], v[56:57]
	v_pk_add_f32 v[70:71], v[70:71], v[76:77]
	v_pk_mul_f32 v[76:77], v[78:79], s[16:17]
	v_pk_mul_f32 v[78:79], v[80:81], s[18:19]
	v_mov_b32_e32 v2, v55
	v_mov_b32_e32 v36, v41
	v_pk_add_f32 v[32:33], v[32:33], v[52:53]
	s_waitcnt lgkmcnt(0)
	v_pk_add_f32 v[60:61], v[60:61], v[70:71]
	v_pk_fma_f32 v[80:81], v[80:81], s[18:19], v[76:77]
	v_pk_fma_f32 v[58:59], v[58:59], s[8:9], v[38:39]
	v_pk_add_f32 v[52:53], v[56:57], v[52:53] neg_lo:[0,1] neg_hi:[0,1]
	v_pk_add_f32 v[2:3], v[2:3], v[36:37] neg_lo:[0,1] neg_hi:[0,1]
	v_mov_b32_e32 v36, v78
	v_mov_b32_e32 v37, v77
	;; [unrolled: 1-line block ×6, first 2 shown]
	v_pk_fma_f32 v[70:71], v[70:71], s[14:15], v[60:61] op_sel_hi:[1,0,1] neg_lo:[1,0,0] neg_hi:[1,0,0]
	v_pk_fma_f32 v[36:37], v[2:3], s[12:13], v[36:37] op_sel_hi:[1,0,1] neg_lo:[1,0,1] neg_hi:[1,0,1]
	;; [unrolled: 1-line block ×5, first 2 shown]
	v_pk_fma_f32 v[58:59], v[32:33], s[0:1], v[58:59] op_sel_hi:[1,0,1]
	v_pk_fma_f32 v[40:41], v[32:33], s[0:1], v[40:41] op_sel_hi:[1,0,1]
	v_pk_add_f32 v[2:3], v[2:3], v[70:71]
	v_pk_fma_f32 v[32:33], v[32:33], s[0:1], v[38:39] op_sel_hi:[1,0,1]
	v_pk_add_f32 v[36:37], v[36:37], v[70:71]
	v_pk_add_f32 v[38:39], v[2:3], v[32:33] neg_lo:[0,1] neg_hi:[0,1]
	v_pk_add_f32 v[2:3], v[2:3], v[32:33]
	v_mov_b32_e32 v32, v38
	v_mov_b32_e32 v33, v3
	ds_write_b64 v120, v[32:33] offset:4032
	v_mov_b32_e32 v3, v39
	v_pk_mul_f32 v[32:33], v[48:49], v[12:13] op_sel_hi:[1,0]
	ds_write_b64 v120, v[2:3] offset:5376
	v_mov_b32_e32 v2, v13
	v_pk_fma_f32 v[12:13], v[48:49], v[12:13], v[32:33] op_sel:[0,1,1] op_sel_hi:[1,1,0]
	v_pk_fma_f32 v[2:3], v[48:49], v[2:3], v[32:33] op_sel:[0,0,1] op_sel_hi:[1,1,0] neg_lo:[0,0,1] neg_hi:[0,0,1]
	v_mov_b32_e32 v12, v35
	v_pk_mul_f32 v[32:33], v[50:51], v[34:35] op_sel_hi:[1,0]
	v_mov_b32_e32 v3, v13
	v_pk_fma_f32 v[12:13], v[50:51], v[12:13], v[32:33] op_sel:[0,0,1] op_sel_hi:[1,1,0] neg_lo:[0,0,1] neg_hi:[0,0,1]
	v_pk_fma_f32 v[32:33], v[50:51], v[34:35], v[32:33] op_sel:[0,1,1] op_sel_hi:[1,1,0]
	v_pk_mul_f32 v[34:35], v[44:45], v[4:5] op_sel_hi:[1,0]
	v_mov_b32_e32 v32, v5
	v_pk_fma_f32 v[4:5], v[44:45], v[4:5], v[34:35] op_sel:[0,1,1] op_sel_hi:[1,1,0]
	v_mov_b32_e32 v13, v33
	v_pk_fma_f32 v[32:33], v[44:45], v[32:33], v[34:35] op_sel:[0,0,1] op_sel_hi:[1,1,0] neg_lo:[0,0,1] neg_hi:[0,0,1]
	v_mov_b32_e32 v4, v43
	v_pk_mul_f32 v[34:35], v[46:47], v[42:43] op_sel_hi:[1,0]
	v_pk_add_f32 v[54:55], v[36:37], v[40:41]
	v_pk_add_f32 v[36:37], v[36:37], v[40:41] neg_lo:[0,1] neg_hi:[0,1]
	v_mov_b32_e32 v33, v5
	v_pk_fma_f32 v[4:5], v[46:47], v[4:5], v[34:35] op_sel:[0,0,1] op_sel_hi:[1,1,0] neg_lo:[0,0,1] neg_hi:[0,0,1]
	v_pk_fma_f32 v[34:35], v[46:47], v[42:43], v[34:35] op_sel:[0,1,1] op_sel_hi:[1,1,0]
	v_pk_add_f32 v[80:81], v[80:81], v[70:71]
	v_mov_b32_e32 v41, v37
	v_mov_b32_e32 v37, v55
	;; [unrolled: 1-line block ×7, first 2 shown]
	v_pk_add_f32 v[82:83], v[80:81], v[58:59]
	v_pk_add_f32 v[58:59], v[80:81], v[58:59] neg_lo:[0,1] neg_hi:[0,1]
	v_mov_b32_e32 v40, v54
	ds_write_b64 v120, v[36:37] offset:6720
	v_pk_add_f32 v[34:35], v[2:3], v[4:5]
	v_pk_add_f32 v[36:37], v[2:3], v[4:5] neg_lo:[0,1] neg_hi:[0,1]
	v_pk_add_f32 v[2:3], v[100:101], v[102:103]
	v_pk_add_f32 v[4:5], v[92:93], v[98:99]
	ds_write_b64 v120, v[40:41] offset:2688
	v_mov_b32_e32 v40, v82
	v_mov_b32_e32 v41, v59
	v_pk_add_f32 v[38:39], v[12:13], v[32:33]
	v_mov_b32_e32 v67, v2
	v_mov_b32_e32 v65, v4
	ds_write_b64 v120, v[40:41] offset:1344
	v_pk_add_f32 v[40:41], v[12:13], v[32:33] neg_lo:[0,1] neg_hi:[0,1]
	v_pk_add_f32 v[12:13], v[66:67], v[64:65] neg_lo:[0,1] neg_hi:[0,1]
	v_mov_b32_e32 v46, v39
	v_mov_b32_e32 v47, v64
	v_mov_b32_e32 v48, v35
	v_mov_b32_e32 v49, v66
	v_mov_b32_e32 v32, v12
	v_mov_b32_e32 v33, v37
	v_mov_b32_e32 v42, v40
	v_mov_b32_e32 v43, v13
	v_pk_add_f32 v[46:47], v[46:47], v[48:49]
	v_pk_add_f32 v[48:49], v[4:5], v[2:3]
	v_pk_add_f32 v[32:33], v[32:33], v[42:43] neg_lo:[0,1] neg_hi:[0,1]
	v_mov_b32_e32 v42, v36
	v_mov_b32_e32 v44, v12
	;; [unrolled: 1-line block ×9, first 2 shown]
	v_pk_add_f32 v[42:43], v[42:43], v[44:45] neg_lo:[0,1] neg_hi:[0,1]
	v_pk_add_f32 v[50:51], v[2:3], v[50:51] neg_lo:[0,1] neg_hi:[0,1]
	v_pk_add_f32 v[52:53], v[52:53], v[4:5] neg_lo:[0,1] neg_hi:[0,1]
	v_pk_mul_f32 v[32:33], v[32:33], s[10:11]
	v_pk_mul_f32 v[44:45], v[42:43], s[8:9]
	v_pk_add_f32 v[12:13], v[12:13], v[40:41]
	v_pk_add_f32 v[46:47], v[46:47], v[48:49]
	v_pk_mul_f32 v[50:51], v[50:51], s[16:17]
	v_pk_mul_f32 v[54:55], v[52:53], s[18:19]
	v_mov_b32_e32 v4, v39
	v_mov_b32_e32 v2, v35
	v_pk_add_f32 v[12:13], v[12:13], v[36:37]
	v_pk_add_f32 v[48:49], v[62:63], v[46:47]
	v_pk_fma_f32 v[52:53], v[52:53], s[18:19], v[50:51]
	v_pk_fma_f32 v[42:43], v[42:43], s[8:9], v[32:33]
	v_pk_add_f32 v[36:37], v[40:41], v[36:37] neg_lo:[0,1] neg_hi:[0,1]
	v_pk_add_f32 v[2:3], v[4:5], v[2:3] neg_lo:[0,1] neg_hi:[0,1]
	v_mov_b32_e32 v4, v54
	v_mov_b32_e32 v5, v51
	;; [unrolled: 1-line block ×6, first 2 shown]
	v_pk_fma_f32 v[46:47], v[46:47], s[14:15], v[48:49] op_sel_hi:[1,0,1] neg_lo:[1,0,0] neg_hi:[1,0,0]
	v_pk_fma_f32 v[4:5], v[2:3], s[12:13], v[4:5] op_sel_hi:[1,0,1] neg_lo:[1,0,1] neg_hi:[1,0,1]
	;; [unrolled: 1-line block ×5, first 2 shown]
	v_pk_fma_f32 v[42:43], v[12:13], s[0:1], v[42:43] op_sel_hi:[1,0,1]
	v_pk_add_f32 v[4:5], v[4:5], v[46:47]
	v_pk_fma_f32 v[34:35], v[12:13], s[0:1], v[34:35] op_sel_hi:[1,0,1]
	v_pk_add_f32 v[2:3], v[2:3], v[46:47]
	;; [unrolled: 2-line block ×3, first 2 shown]
	v_pk_add_f32 v[4:5], v[4:5], v[34:35] neg_lo:[0,1] neg_hi:[0,1]
	v_pk_add_f32 v[32:33], v[2:3], v[12:13] neg_lo:[0,1] neg_hi:[0,1]
	v_pk_add_f32 v[2:3], v[2:3], v[12:13]
	v_mov_b32_e32 v59, v83
	v_mov_b32_e32 v35, v5
	;; [unrolled: 1-line block ×5, first 2 shown]
	ds_write_b64 v120, v[58:59] offset:8064
	ds_write2_b64 v120, v[60:61], v[48:49] offset1:56
	ds_write_b64 v120, v[2:3] offset:5824
	ds_write_b64 v120, v[4:5] offset:7168
	v_mov_b32_e32 v2, v15
	v_pk_mul_f32 v[4:5], v[24:25], v[14:15] op_sel_hi:[1,0]
	v_mov_b32_e32 v12, v32
	v_pk_fma_f32 v[2:3], v[24:25], v[2:3], v[4:5] op_sel:[0,0,1] op_sel_hi:[1,1,0] neg_lo:[0,0,1] neg_hi:[0,0,1]
	v_pk_fma_f32 v[4:5], v[24:25], v[14:15], v[4:5] op_sel:[0,1,1] op_sel_hi:[1,1,0]
	ds_write_b64 v120, v[12:13] offset:4480
	v_mov_b32_e32 v4, v9
	v_pk_mul_f32 v[12:13], v[26:27], v[8:9] op_sel_hi:[1,0]
	v_mov_b32_e32 v3, v5
	v_pk_fma_f32 v[4:5], v[26:27], v[4:5], v[12:13] op_sel:[0,0,1] op_sel_hi:[1,1,0] neg_lo:[0,0,1] neg_hi:[0,0,1]
	v_pk_fma_f32 v[8:9], v[26:27], v[8:9], v[12:13] op_sel:[0,1,1] op_sel_hi:[1,1,0]
	v_pk_mul_f32 v[12:13], v[72:73], v[6:7] op_sel_hi:[1,0]
	v_mov_b32_e32 v8, v7
	v_pk_fma_f32 v[6:7], v[72:73], v[6:7], v[12:13] op_sel:[0,1,1] op_sel_hi:[1,1,0]
	v_mov_b32_e32 v5, v9
	v_pk_fma_f32 v[8:9], v[72:73], v[8:9], v[12:13] op_sel:[0,0,1] op_sel_hi:[1,1,0] neg_lo:[0,0,1] neg_hi:[0,0,1]
	v_mov_b32_e32 v6, v17
	v_pk_mul_f32 v[12:13], v[74:75], v[16:17] op_sel_hi:[1,0]
	v_mov_b32_e32 v9, v7
	v_pk_fma_f32 v[6:7], v[74:75], v[6:7], v[12:13] op_sel:[0,0,1] op_sel_hi:[1,1,0] neg_lo:[0,0,1] neg_hi:[0,0,1]
	v_pk_fma_f32 v[12:13], v[74:75], v[16:17], v[12:13] op_sel:[0,1,1] op_sel_hi:[1,1,0]
	v_mov_b32_e32 v29, v2
	v_mov_b32_e32 v7, v13
	;; [unrolled: 1-line block ×5, first 2 shown]
	v_pk_add_f32 v[12:13], v[2:3], v[6:7]
	v_pk_add_f32 v[14:15], v[2:3], v[6:7] neg_lo:[0,1] neg_hi:[0,1]
	v_pk_add_f32 v[16:17], v[4:5], v[8:9]
	v_pk_add_f32 v[24:25], v[4:5], v[8:9] neg_lo:[0,1] neg_hi:[0,1]
	v_pk_add_f32 v[2:3], v[28:29], v[30:31]
	v_pk_add_f32 v[4:5], v[20:21], v[22:23]
	v_mov_b32_e32 v19, v2
	v_mov_b32_e32 v11, v4
	v_pk_add_f32 v[6:7], v[18:19], v[10:11] neg_lo:[0,1] neg_hi:[0,1]
	v_mov_b32_e32 v26, v17
	v_mov_b32_e32 v27, v10
	;; [unrolled: 1-line block ×4, first 2 shown]
	v_pk_add_f32 v[10:11], v[26:27], v[10:11]
	v_pk_add_f32 v[18:19], v[4:5], v[2:3]
	v_mov_b32_e32 v8, v6
	v_mov_b32_e32 v9, v15
	;; [unrolled: 1-line block ×6, first 2 shown]
	v_pk_add_f32 v[8:9], v[8:9], v[20:21] neg_lo:[0,1] neg_hi:[0,1]
	v_mov_b32_e32 v20, v14
	v_mov_b32_e32 v22, v6
	v_mov_b32_e32 v23, v25
	v_pk_add_f32 v[26:27], v[2:3], v[26:27] neg_lo:[0,1] neg_hi:[0,1]
	v_mov_b32_e32 v28, v13
	v_mov_b32_e32 v29, v11
	;; [unrolled: 1-line block ×3, first 2 shown]
	v_pk_add_f32 v[10:11], v[10:11], v[18:19]
	v_pk_mul_f32 v[8:9], v[8:9], s[10:11]
	v_pk_add_f32 v[20:21], v[20:21], v[22:23] neg_lo:[0,1] neg_hi:[0,1]
	v_pk_add_f32 v[6:7], v[6:7], v[24:25]
	v_pk_add_f32 v[28:29], v[28:29], v[4:5] neg_lo:[0,1] neg_hi:[0,1]
	v_pk_add_f32 v[0:1], v[0:1], v[10:11]
	v_pk_mul_f32 v[18:19], v[26:27], s[16:17]
	v_pk_mul_f32 v[22:23], v[20:21], s[8:9]
	v_pk_add_f32 v[6:7], v[6:7], v[14:15]
	v_pk_mul_f32 v[26:27], v[28:29], s[18:19]
	v_pk_fma_f32 v[10:11], v[10:11], s[14:15], v[0:1] op_sel_hi:[1,0,1] neg_lo:[1,0,0] neg_hi:[1,0,0]
	v_pk_fma_f32 v[28:29], v[28:29], s[18:19], v[18:19]
	v_pk_fma_f32 v[20:21], v[20:21], s[8:9], v[8:9]
	v_pk_add_f32 v[52:53], v[52:53], v[46:47]
	v_pk_add_f32 v[28:29], v[28:29], v[10:11]
	v_pk_fma_f32 v[20:21], v[6:7], s[0:1], v[20:21] op_sel_hi:[1,0,1]
	v_pk_add_f32 v[56:57], v[52:53], v[42:43]
	v_pk_add_f32 v[42:43], v[52:53], v[42:43] neg_lo:[0,1] neg_hi:[0,1]
	v_pk_add_f32 v[30:31], v[28:29], v[20:21]
	v_pk_add_f32 v[20:21], v[28:29], v[20:21] neg_lo:[0,1] neg_hi:[0,1]
	v_mov_b32_e32 v48, v56
	v_mov_b32_e32 v49, v43
	;; [unrolled: 1-line block ×4, first 2 shown]
	ds_write_b64 v120, v[0:1] offset:896
	v_mov_b32_e32 v0, v30
	v_mov_b32_e32 v1, v21
	;; [unrolled: 1-line block ×4, first 2 shown]
	ds_write_b64 v120, v[34:35] offset:3136
	ds_write_b64 v120, v[42:43] offset:8512
	ds_write2_b64 v96, v[48:49], v[0:1] offset0:96 offset1:152
	v_pk_add_f32 v[0:1], v[24:25], v[14:15] neg_lo:[0,1] neg_hi:[0,1]
	v_pk_add_f32 v[2:3], v[4:5], v[2:3] neg_lo:[0,1] neg_hi:[0,1]
	v_mov_b32_e32 v4, v26
	v_mov_b32_e32 v5, v19
	;; [unrolled: 1-line block ×6, first 2 shown]
	v_pk_fma_f32 v[4:5], v[2:3], s[12:13], v[4:5] op_sel_hi:[1,0,1] neg_lo:[1,0,1] neg_hi:[1,0,1]
	v_pk_fma_f32 v[12:13], v[0:1], s[6:7], v[12:13] op_sel_hi:[1,0,1] neg_lo:[1,0,1] neg_hi:[1,0,1]
	;; [unrolled: 1-line block ×4, first 2 shown]
	v_pk_add_f32 v[4:5], v[4:5], v[10:11]
	v_pk_fma_f32 v[12:13], v[6:7], s[0:1], v[12:13] op_sel_hi:[1,0,1]
	v_pk_add_f32 v[2:3], v[2:3], v[10:11]
	v_pk_fma_f32 v[0:1], v[6:7], s[0:1], v[0:1] op_sel_hi:[1,0,1]
	v_pk_add_f32 v[14:15], v[4:5], v[12:13]
	v_pk_add_f32 v[4:5], v[4:5], v[12:13] neg_lo:[0,1] neg_hi:[0,1]
	v_pk_add_f32 v[6:7], v[2:3], v[0:1] neg_lo:[0,1] neg_hi:[0,1]
	v_pk_add_f32 v[0:1], v[2:3], v[0:1]
	v_mov_b32_e32 v12, v14
	v_mov_b32_e32 v13, v5
	;; [unrolled: 1-line block ×7, first 2 shown]
	ds_write_b64 v120, v[12:13] offset:3584
	ds_write_b64 v120, v[2:3] offset:4928
	;; [unrolled: 1-line block ×5, first 2 shown]
	s_waitcnt lgkmcnt(0)
	; wave barrier
	s_waitcnt lgkmcnt(0)
	ds_read2_b64 v[0:3], v120 offset1:56
	v_mov_b32_e32 v4, v91
	v_mad_u64_u32 v[4:5], s[0:1], s7, v142, v[4:5]
	v_mov_b32_e32 v91, v4
	s_waitcnt lgkmcnt(0)
	v_mul_f32_e32 v4, v153, v1
	v_fmac_f32_e32 v4, v152, v0
	s_mov_b32 s0, 0x899406f7
	v_mul_f32_e32 v0, v153, v0
	v_cvt_f64_f32_e32 v[4:5], v4
	s_mov_b32 s1, 0x3f4bdd2b
	v_fma_f32 v0, v152, v1, -v0
	v_mul_f64 v[4:5], v[4:5], s[0:1]
	v_cvt_f64_f32_e32 v[0:1], v0
	v_cvt_f32_f64_e32 v8, v[4:5]
	v_mul_f64 v[0:1], v[0:1], s[0:1]
	v_mad_u64_u32 v[10:11], s[6:7], s4, v136, 0
	ds_read2_b64 v[4:7], v97 offset0:76 offset1:132
	v_cvt_f32_f64_e32 v9, v[0:1]
	v_mov_b32_e32 v0, v11
	v_mad_u64_u32 v[0:1], s[6:7], s5, v136, v[0:1]
	v_mov_b32_e32 v11, v0
	v_lshl_add_u64 v[0:1], v[90:91], 3, v[88:89]
	v_lshl_add_u64 v[10:11], v[10:11], 3, v[0:1]
	global_store_dwordx2 v[10:11], v[8:9], off
	s_waitcnt lgkmcnt(0)
	v_mul_f32_e32 v8, v149, v5
	v_fmac_f32_e32 v8, v148, v4
	v_mul_f32_e32 v4, v149, v4
	v_fma_f32 v4, v148, v5, -v4
	s_mul_i32 s6, s5, 0x24c
	s_mul_hi_u32 s7, s4, 0x24c
	v_cvt_f64_f32_e32 v[8:9], v8
	v_cvt_f64_f32_e32 v[4:5], v4
	s_add_i32 s7, s7, s6
	s_mul_i32 s6, s4, 0x24c
	v_mul_f64 v[8:9], v[8:9], s[0:1]
	v_mul_f64 v[4:5], v[4:5], s[0:1]
	s_lshl_b64 s[10:11], s[6:7], 3
	v_cvt_f32_f64_e32 v8, v[8:9]
	v_cvt_f32_f64_e32 v9, v[4:5]
	v_lshl_add_u64 v[4:5], v[10:11], 0, s[10:11]
	global_store_dwordx2 v[4:5], v[8:9], off
	v_mul_f32_e32 v8, v147, v3
	v_fmac_f32_e32 v8, v146, v2
	v_mul_f32_e32 v2, v147, v2
	v_fma_f32 v2, v146, v3, -v2
	v_cvt_f64_f32_e32 v[8:9], v8
	v_cvt_f64_f32_e32 v[2:3], v2
	v_mul_f64 v[8:9], v[8:9], s[0:1]
	v_mul_f64 v[2:3], v[2:3], s[0:1]
	s_mul_hi_u32 s9, s4, 0xfffffdec
	v_cvt_f32_f64_e32 v8, v[8:9]
	v_cvt_f32_f64_e32 v9, v[2:3]
	s_mul_i32 s8, s5, 0xfffffdec
	s_sub_i32 s9, s9, s4
	v_mul_f32_e32 v2, v145, v7
	s_add_i32 s9, s9, s8
	s_mul_i32 s8, s4, 0xfffffdec
	v_fmac_f32_e32 v2, v144, v6
	s_lshl_b64 s[12:13], s[8:9], 3
	v_cvt_f64_f32_e32 v[2:3], v2
	v_lshl_add_u64 v[10:11], v[4:5], 0, s[12:13]
	v_mul_f64 v[2:3], v[2:3], s[0:1]
	global_store_dwordx2 v[10:11], v[8:9], off
	v_cvt_f32_f64_e32 v8, v[2:3]
	v_mul_f32_e32 v2, v145, v6
	v_fma_f32 v2, v144, v7, -v2
	v_cvt_f64_f32_e32 v[6:7], v2
	ds_read2_b64 v[2:5], v120 offset0:112 offset1:168
	v_mul_f64 v[6:7], v[6:7], s[0:1]
	v_cvt_f32_f64_e32 v9, v[6:7]
	v_lshl_add_u64 v[10:11], v[10:11], 0, s[10:11]
	global_store_dwordx2 v[10:11], v[8:9], off
	s_waitcnt lgkmcnt(0)
	v_mul_f32_e32 v6, v167, v3
	v_fmac_f32_e32 v6, v166, v2
	v_cvt_f64_f32_e32 v[6:7], v6
	v_mul_f64 v[6:7], v[6:7], s[0:1]
	v_cvt_f32_f64_e32 v12, v[6:7]
	ds_read2_b64 v[6:9], v97 offset0:188 offset1:244
	v_mul_f32_e32 v2, v167, v2
	v_fma_f32 v2, v166, v3, -v2
	v_cvt_f64_f32_e32 v[2:3], v2
	v_mul_f64 v[2:3], v[2:3], s[0:1]
	v_cvt_f32_f64_e32 v13, v[2:3]
	v_lshl_add_u64 v[2:3], v[10:11], 0, s[12:13]
	s_waitcnt lgkmcnt(0)
	v_mul_f32_e32 v10, v165, v7
	v_fmac_f32_e32 v10, v164, v6
	v_mul_f32_e32 v6, v165, v6
	v_fma_f32 v6, v164, v7, -v6
	v_cvt_f64_f32_e32 v[10:11], v10
	v_cvt_f64_f32_e32 v[6:7], v6
	v_mul_f64 v[10:11], v[10:11], s[0:1]
	v_mul_f64 v[6:7], v[6:7], s[0:1]
	v_cvt_f32_f64_e32 v10, v[10:11]
	v_cvt_f32_f64_e32 v11, v[6:7]
	v_mul_f32_e32 v6, v163, v5
	global_store_dwordx2 v[2:3], v[12:13], off
	v_lshl_add_u64 v[2:3], v[2:3], 0, s[10:11]
	v_fmac_f32_e32 v6, v162, v4
	v_mul_f32_e32 v4, v163, v4
	global_store_dwordx2 v[2:3], v[10:11], off
	v_fma_f32 v4, v162, v5, -v4
	v_lshl_add_u64 v[10:11], v[2:3], 0, s[12:13]
	v_mul_f32_e32 v2, v161, v9
	v_cvt_f64_f32_e32 v[6:7], v6
	v_cvt_f64_f32_e32 v[4:5], v4
	v_fmac_f32_e32 v2, v160, v8
	v_mul_f64 v[6:7], v[6:7], s[0:1]
	v_mul_f64 v[4:5], v[4:5], s[0:1]
	v_cvt_f64_f32_e32 v[2:3], v2
	v_cvt_f32_f64_e32 v6, v[6:7]
	v_cvt_f32_f64_e32 v7, v[4:5]
	v_mul_f64 v[2:3], v[2:3], s[0:1]
	global_store_dwordx2 v[10:11], v[6:7], off
	v_cvt_f32_f64_e32 v6, v[2:3]
	v_mul_f32_e32 v2, v161, v8
	v_fma_f32 v2, v160, v9, -v2
	v_cvt_f64_f32_e32 v[8:9], v2
	ds_read2_b64 v[2:5], v96 offset0:96 offset1:152
	v_mul_f64 v[8:9], v[8:9], s[0:1]
	v_cvt_f32_f64_e32 v7, v[8:9]
	v_lshl_add_u64 v[10:11], v[10:11], 0, s[10:11]
	global_store_dwordx2 v[10:11], v[6:7], off
	s_waitcnt lgkmcnt(0)
	v_mul_f32_e32 v6, v159, v3
	v_fmac_f32_e32 v6, v158, v2
	v_cvt_f64_f32_e32 v[6:7], v6
	v_mul_f64 v[6:7], v[6:7], s[0:1]
	v_cvt_f32_f64_e32 v12, v[6:7]
	ds_read2_b64 v[6:9], v95 offset0:44 offset1:100
	v_mul_f32_e32 v2, v159, v2
	v_fma_f32 v2, v158, v3, -v2
	v_cvt_f64_f32_e32 v[2:3], v2
	v_mul_f64 v[2:3], v[2:3], s[0:1]
	v_cvt_f32_f64_e32 v13, v[2:3]
	v_lshl_add_u64 v[2:3], v[10:11], 0, s[12:13]
	s_waitcnt lgkmcnt(0)
	v_mul_f32_e32 v10, v157, v7
	v_fmac_f32_e32 v10, v156, v6
	v_mul_f32_e32 v6, v157, v6
	v_fma_f32 v6, v156, v7, -v6
	v_cvt_f64_f32_e32 v[10:11], v10
	v_cvt_f64_f32_e32 v[6:7], v6
	v_mul_f64 v[10:11], v[10:11], s[0:1]
	v_mul_f64 v[6:7], v[6:7], s[0:1]
	v_cvt_f32_f64_e32 v10, v[10:11]
	v_cvt_f32_f64_e32 v11, v[6:7]
	v_mul_f32_e32 v6, v155, v5
	global_store_dwordx2 v[2:3], v[12:13], off
	v_lshl_add_u64 v[2:3], v[2:3], 0, s[10:11]
	v_fmac_f32_e32 v6, v154, v4
	v_mul_f32_e32 v4, v155, v4
	global_store_dwordx2 v[2:3], v[10:11], off
	v_fma_f32 v4, v154, v5, -v4
	v_lshl_add_u64 v[10:11], v[2:3], 0, s[12:13]
	v_mul_f32_e32 v2, v151, v9
	v_cvt_f64_f32_e32 v[6:7], v6
	v_cvt_f64_f32_e32 v[4:5], v4
	v_fmac_f32_e32 v2, v150, v8
	v_mul_f64 v[6:7], v[6:7], s[0:1]
	v_mul_f64 v[4:5], v[4:5], s[0:1]
	v_cvt_f64_f32_e32 v[2:3], v2
	v_cvt_f32_f64_e32 v6, v[6:7]
	v_cvt_f32_f64_e32 v7, v[4:5]
	;; [unrolled: 52-line block ×3, first 2 shown]
	v_mul_f64 v[2:3], v[2:3], s[0:1]
	global_store_dwordx2 v[10:11], v[6:7], off
	v_cvt_f32_f64_e32 v6, v[2:3]
	v_mul_f32_e32 v2, v129, v8
	v_fma_f32 v2, v128, v9, -v2
	v_cvt_f64_f32_e32 v[8:9], v2
	ds_read2_b64 v[2:5], v94 offset0:192 offset1:248
	v_mul_f64 v[8:9], v[8:9], s[0:1]
	v_cvt_f32_f64_e32 v7, v[8:9]
	v_lshl_add_u64 v[10:11], v[10:11], 0, s[10:11]
	global_store_dwordx2 v[10:11], v[6:7], off
	s_waitcnt lgkmcnt(0)
	v_mul_f32_e32 v6, v135, v3
	v_fmac_f32_e32 v6, v134, v2
	v_mul_f32_e32 v2, v135, v2
	v_fma_f32 v2, v134, v3, -v2
	v_cvt_f64_f32_e32 v[2:3], v2
	v_cvt_f64_f32_e32 v[6:7], v6
	v_mul_f64 v[2:3], v[2:3], s[0:1]
	v_mul_f64 v[6:7], v[6:7], s[0:1]
	v_cvt_f32_f64_e32 v13, v[2:3]
	v_mad_u64_u32 v[2:3], s[14:15], s4, v121, 0
	v_cvt_f32_f64_e32 v12, v[6:7]
	v_mov_b32_e32 v6, v3
	v_add_u32_e32 v3, 0x2000, v120
	v_mad_u64_u32 v[14:15], s[14:15], s5, v121, v[6:7]
	ds_read2_b64 v[6:9], v3 offset0:12 offset1:68
	v_mov_b32_e32 v3, v14
	v_lshl_add_u64 v[0:1], v[2:3], 3, v[0:1]
	global_store_dwordx2 v[0:1], v[12:13], off
	s_movk_i32 s14, 0x2000
	s_waitcnt lgkmcnt(0)
	v_mul_f32_e32 v0, v131, v7
	v_fmac_f32_e32 v0, v130, v6
	v_cvt_f64_f32_e32 v[0:1], v0
	v_mul_f64 v[0:1], v[0:1], s[0:1]
	v_cvt_f32_f64_e32 v0, v[0:1]
	v_mul_f32_e32 v1, v131, v6
	v_fma_f32 v1, v130, v7, -v1
	v_cvt_f64_f32_e32 v[2:3], v1
	v_mul_f64 v[2:3], v[2:3], s[0:1]
	v_cvt_f32_f64_e32 v1, v[2:3]
	v_mov_b32_e32 v2, 0x1c0
	v_mad_u64_u32 v[2:3], s[16:17], s4, v2, v[10:11]
	s_mul_i32 s4, s5, 0x1c0
	v_add_u32_e32 v3, s4, v3
	global_store_dwordx2 v[2:3], v[0:1], off
	v_mul_f32_e32 v0, v127, v5
	v_fmac_f32_e32 v0, v126, v4
	v_cvt_f64_f32_e32 v[0:1], v0
	v_mul_f64 v[0:1], v[0:1], s[0:1]
	v_cvt_f32_f64_e32 v0, v[0:1]
	v_mul_f32_e32 v1, v127, v4
	v_fma_f32 v1, v126, v5, -v1
	v_cvt_f64_f32_e32 v[4:5], v1
	v_mul_f64 v[4:5], v[4:5], s[0:1]
	v_cvt_f32_f64_e32 v1, v[4:5]
	v_lshl_add_u64 v[2:3], v[2:3], 0, s[12:13]
	global_store_dwordx2 v[2:3], v[0:1], off
	v_mul_f32_e32 v0, v125, v9
	v_fmac_f32_e32 v0, v124, v8
	v_cvt_f64_f32_e32 v[0:1], v0
	v_mul_f64 v[0:1], v[0:1], s[0:1]
	v_cvt_f32_f64_e32 v4, v[0:1]
	v_mul_f32_e32 v0, v125, v8
	v_fma_f32 v0, v124, v9, -v0
	v_cvt_f64_f32_e32 v[0:1], v0
	v_mul_f64 v[0:1], v[0:1], s[0:1]
	v_cvt_f32_f64_e32 v5, v[0:1]
	v_lshl_add_u64 v[0:1], v[2:3], 0, s[10:11]
	global_store_dwordx2 v[0:1], v[4:5], off
	s_and_b64 exec, exec, s[2:3]
	s_cbranch_execz .LBB0_31
; %bb.30:
	v_add_co_u32_e32 v2, vcc, 0x1000, v122
	v_lshl_add_u64 v[0:1], s[8:9], 3, v[0:1]
	s_nop 0
	v_addc_co_u32_e32 v3, vcc, 0, v123, vcc
	global_load_dwordx2 v[2:3], v[2:3], off offset:384
	ds_read_b64 v[4:5], v120 offset:4480
	ds_read_b64 v[6:7], v120 offset:9184
	v_add_co_u32_e32 v8, vcc, s14, v122
	s_waitcnt vmcnt(0) lgkmcnt(1)
	v_mul_f32_e32 v10, v5, v3
	v_mul_f32_e32 v3, v4, v3
	v_fmac_f32_e32 v10, v4, v2
	v_fma_f32 v4, v2, v5, -v3
	v_cvt_f64_f32_e32 v[2:3], v10
	v_cvt_f64_f32_e32 v[4:5], v4
	v_mul_f64 v[2:3], v[2:3], s[0:1]
	v_mul_f64 v[4:5], v[4:5], s[0:1]
	v_cvt_f32_f64_e32 v2, v[2:3]
	v_cvt_f32_f64_e32 v3, v[4:5]
	v_addc_co_u32_e32 v9, vcc, 0, v123, vcc
	global_store_dwordx2 v[0:1], v[2:3], off
	global_load_dwordx2 v[2:3], v[8:9], off offset:992
	v_lshl_add_u64 v[0:1], s[6:7], 3, v[0:1]
	s_waitcnt vmcnt(0) lgkmcnt(0)
	v_mul_f32_e32 v4, v7, v3
	v_mul_f32_e32 v3, v6, v3
	v_fmac_f32_e32 v4, v6, v2
	v_fma_f32 v5, v2, v7, -v3
	v_cvt_f64_f32_e32 v[2:3], v4
	v_cvt_f64_f32_e32 v[4:5], v5
	v_mul_f64 v[2:3], v[2:3], s[0:1]
	v_mul_f64 v[4:5], v[4:5], s[0:1]
	v_cvt_f32_f64_e32 v2, v[2:3]
	v_cvt_f32_f64_e32 v3, v[4:5]
	global_store_dwordx2 v[0:1], v[2:3], off
.LBB0_31:
	s_endpgm
	.section	.rodata,"a",@progbits
	.p2align	6, 0x0
	.amdhsa_kernel bluestein_single_fwd_len1176_dim1_sp_op_CI_CI
		.amdhsa_group_segment_fixed_size 9408
		.amdhsa_private_segment_fixed_size 0
		.amdhsa_kernarg_size 104
		.amdhsa_user_sgpr_count 2
		.amdhsa_user_sgpr_dispatch_ptr 0
		.amdhsa_user_sgpr_queue_ptr 0
		.amdhsa_user_sgpr_kernarg_segment_ptr 1
		.amdhsa_user_sgpr_dispatch_id 0
		.amdhsa_user_sgpr_kernarg_preload_length 0
		.amdhsa_user_sgpr_kernarg_preload_offset 0
		.amdhsa_user_sgpr_private_segment_size 0
		.amdhsa_uses_dynamic_stack 0
		.amdhsa_enable_private_segment 0
		.amdhsa_system_sgpr_workgroup_id_x 1
		.amdhsa_system_sgpr_workgroup_id_y 0
		.amdhsa_system_sgpr_workgroup_id_z 0
		.amdhsa_system_sgpr_workgroup_info 0
		.amdhsa_system_vgpr_workitem_id 0
		.amdhsa_next_free_vgpr 261
		.amdhsa_next_free_sgpr 28
		.amdhsa_accum_offset 256
		.amdhsa_reserve_vcc 1
		.amdhsa_float_round_mode_32 0
		.amdhsa_float_round_mode_16_64 0
		.amdhsa_float_denorm_mode_32 3
		.amdhsa_float_denorm_mode_16_64 3
		.amdhsa_dx10_clamp 1
		.amdhsa_ieee_mode 1
		.amdhsa_fp16_overflow 0
		.amdhsa_tg_split 0
		.amdhsa_exception_fp_ieee_invalid_op 0
		.amdhsa_exception_fp_denorm_src 0
		.amdhsa_exception_fp_ieee_div_zero 0
		.amdhsa_exception_fp_ieee_overflow 0
		.amdhsa_exception_fp_ieee_underflow 0
		.amdhsa_exception_fp_ieee_inexact 0
		.amdhsa_exception_int_div_zero 0
	.end_amdhsa_kernel
	.text
.Lfunc_end0:
	.size	bluestein_single_fwd_len1176_dim1_sp_op_CI_CI, .Lfunc_end0-bluestein_single_fwd_len1176_dim1_sp_op_CI_CI
                                        ; -- End function
	.section	.AMDGPU.csdata,"",@progbits
; Kernel info:
; codeLenInByte = 21852
; NumSgprs: 34
; NumVgprs: 256
; NumAgprs: 5
; TotalNumVgprs: 261
; ScratchSize: 0
; MemoryBound: 0
; FloatMode: 240
; IeeeMode: 1
; LDSByteSize: 9408 bytes/workgroup (compile time only)
; SGPRBlocks: 4
; VGPRBlocks: 32
; NumSGPRsForWavesPerEU: 34
; NumVGPRsForWavesPerEU: 261
; AccumOffset: 256
; Occupancy: 1
; WaveLimiterHint : 1
; COMPUTE_PGM_RSRC2:SCRATCH_EN: 0
; COMPUTE_PGM_RSRC2:USER_SGPR: 2
; COMPUTE_PGM_RSRC2:TRAP_HANDLER: 0
; COMPUTE_PGM_RSRC2:TGID_X_EN: 1
; COMPUTE_PGM_RSRC2:TGID_Y_EN: 0
; COMPUTE_PGM_RSRC2:TGID_Z_EN: 0
; COMPUTE_PGM_RSRC2:TIDIG_COMP_CNT: 0
; COMPUTE_PGM_RSRC3_GFX90A:ACCUM_OFFSET: 63
; COMPUTE_PGM_RSRC3_GFX90A:TG_SPLIT: 0
	.text
	.p2alignl 6, 3212836864
	.fill 256, 4, 3212836864
	.type	__hip_cuid_de114738ce4b923e,@object ; @__hip_cuid_de114738ce4b923e
	.section	.bss,"aw",@nobits
	.globl	__hip_cuid_de114738ce4b923e
__hip_cuid_de114738ce4b923e:
	.byte	0                               ; 0x0
	.size	__hip_cuid_de114738ce4b923e, 1

	.ident	"AMD clang version 19.0.0git (https://github.com/RadeonOpenCompute/llvm-project roc-6.4.0 25133 c7fe45cf4b819c5991fe208aaa96edf142730f1d)"
	.section	".note.GNU-stack","",@progbits
	.addrsig
	.addrsig_sym __hip_cuid_de114738ce4b923e
	.amdgpu_metadata
---
amdhsa.kernels:
  - .agpr_count:     5
    .args:
      - .actual_access:  read_only
        .address_space:  global
        .offset:         0
        .size:           8
        .value_kind:     global_buffer
      - .actual_access:  read_only
        .address_space:  global
        .offset:         8
        .size:           8
        .value_kind:     global_buffer
      - .actual_access:  read_only
        .address_space:  global
        .offset:         16
        .size:           8
        .value_kind:     global_buffer
      - .actual_access:  read_only
        .address_space:  global
        .offset:         24
        .size:           8
        .value_kind:     global_buffer
      - .actual_access:  read_only
        .address_space:  global
        .offset:         32
        .size:           8
        .value_kind:     global_buffer
      - .offset:         40
        .size:           8
        .value_kind:     by_value
      - .address_space:  global
        .offset:         48
        .size:           8
        .value_kind:     global_buffer
      - .address_space:  global
        .offset:         56
        .size:           8
        .value_kind:     global_buffer
      - .address_space:  global
        .offset:         64
        .size:           8
        .value_kind:     global_buffer
      - .address_space:  global
        .offset:         72
        .size:           8
        .value_kind:     global_buffer
      - .offset:         80
        .size:           4
        .value_kind:     by_value
      - .address_space:  global
        .offset:         88
        .size:           8
        .value_kind:     global_buffer
      - .address_space:  global
        .offset:         96
        .size:           8
        .value_kind:     global_buffer
    .group_segment_fixed_size: 9408
    .kernarg_segment_align: 8
    .kernarg_segment_size: 104
    .language:       OpenCL C
    .language_version:
      - 2
      - 0
    .max_flat_workgroup_size: 56
    .name:           bluestein_single_fwd_len1176_dim1_sp_op_CI_CI
    .private_segment_fixed_size: 0
    .sgpr_count:     34
    .sgpr_spill_count: 0
    .symbol:         bluestein_single_fwd_len1176_dim1_sp_op_CI_CI.kd
    .uniform_work_group_size: 1
    .uses_dynamic_stack: false
    .vgpr_count:     261
    .vgpr_spill_count: 0
    .wavefront_size: 64
amdhsa.target:   amdgcn-amd-amdhsa--gfx950
amdhsa.version:
  - 1
  - 2
...

	.end_amdgpu_metadata
